;; amdgpu-corpus repo=ROCm/rocFFT kind=compiled arch=gfx1100 opt=O3
	.text
	.amdgcn_target "amdgcn-amd-amdhsa--gfx1100"
	.amdhsa_code_object_version 6
	.protected	fft_rtc_back_len2560_factors_4_4_4_10_4_wgs_128_tpt_128_halfLds_dp_op_CI_CI_unitstride_sbrr_dirReg ; -- Begin function fft_rtc_back_len2560_factors_4_4_4_10_4_wgs_128_tpt_128_halfLds_dp_op_CI_CI_unitstride_sbrr_dirReg
	.globl	fft_rtc_back_len2560_factors_4_4_4_10_4_wgs_128_tpt_128_halfLds_dp_op_CI_CI_unitstride_sbrr_dirReg
	.p2align	8
	.type	fft_rtc_back_len2560_factors_4_4_4_10_4_wgs_128_tpt_128_halfLds_dp_op_CI_CI_unitstride_sbrr_dirReg,@function
fft_rtc_back_len2560_factors_4_4_4_10_4_wgs_128_tpt_128_halfLds_dp_op_CI_CI_unitstride_sbrr_dirReg: ; @fft_rtc_back_len2560_factors_4_4_4_10_4_wgs_128_tpt_128_halfLds_dp_op_CI_CI_unitstride_sbrr_dirReg
; %bb.0:
	s_clause 0x2
	s_load_b128 s[8:11], s[0:1], 0x0
	s_load_b128 s[4:7], s[0:1], 0x58
	;; [unrolled: 1-line block ×3, first 2 shown]
	v_mov_b32_e32 v3, 0
	v_mov_b32_e32 v1, 0
	v_dual_mov_b32 v2, 0 :: v_dual_mov_b32 v5, s15
	s_delay_alu instid0(VALU_DEP_3) | instskip(SKIP_2) | instid1(VALU_DEP_1)
	v_mov_b32_e32 v6, v3
	s_waitcnt lgkmcnt(0)
	v_cmp_lt_u64_e64 s2, s[10:11], 2
	s_and_b32 vcc_lo, exec_lo, s2
	s_cbranch_vccnz .LBB0_8
; %bb.1:
	s_load_b64 s[2:3], s[0:1], 0x10
	v_mov_b32_e32 v1, 0
	v_mov_b32_e32 v2, 0
	s_add_u32 s12, s18, 8
	s_addc_u32 s13, s19, 0
	s_add_u32 s14, s16, 8
	s_addc_u32 s15, s17, 0
	v_dual_mov_b32 v90, v2 :: v_dual_mov_b32 v89, v1
	s_mov_b64 s[22:23], 1
	s_waitcnt lgkmcnt(0)
	s_add_u32 s20, s2, 8
	s_addc_u32 s21, s3, 0
.LBB0_2:                                ; =>This Inner Loop Header: Depth=1
	s_load_b64 s[24:25], s[20:21], 0x0
                                        ; implicit-def: $vgpr91_vgpr92
	s_mov_b32 s2, exec_lo
	s_waitcnt lgkmcnt(0)
	v_or_b32_e32 v4, s25, v6
	s_delay_alu instid0(VALU_DEP_1)
	v_cmpx_ne_u64_e32 0, v[3:4]
	s_xor_b32 s3, exec_lo, s2
	s_cbranch_execz .LBB0_4
; %bb.3:                                ;   in Loop: Header=BB0_2 Depth=1
	v_cvt_f32_u32_e32 v4, s24
	v_cvt_f32_u32_e32 v7, s25
	s_sub_u32 s2, 0, s24
	s_subb_u32 s26, 0, s25
	s_delay_alu instid0(VALU_DEP_1) | instskip(NEXT) | instid1(VALU_DEP_1)
	v_fmac_f32_e32 v4, 0x4f800000, v7
	v_rcp_f32_e32 v4, v4
	s_waitcnt_depctr 0xfff
	v_mul_f32_e32 v4, 0x5f7ffffc, v4
	s_delay_alu instid0(VALU_DEP_1) | instskip(NEXT) | instid1(VALU_DEP_1)
	v_mul_f32_e32 v7, 0x2f800000, v4
	v_trunc_f32_e32 v7, v7
	s_delay_alu instid0(VALU_DEP_1) | instskip(SKIP_1) | instid1(VALU_DEP_2)
	v_fmac_f32_e32 v4, 0xcf800000, v7
	v_cvt_u32_f32_e32 v7, v7
	v_cvt_u32_f32_e32 v4, v4
	s_delay_alu instid0(VALU_DEP_2) | instskip(NEXT) | instid1(VALU_DEP_2)
	v_mul_lo_u32 v8, s2, v7
	v_mul_hi_u32 v9, s2, v4
	v_mul_lo_u32 v10, s26, v4
	s_delay_alu instid0(VALU_DEP_2) | instskip(SKIP_1) | instid1(VALU_DEP_2)
	v_add_nc_u32_e32 v8, v9, v8
	v_mul_lo_u32 v9, s2, v4
	v_add_nc_u32_e32 v8, v8, v10
	s_delay_alu instid0(VALU_DEP_2) | instskip(NEXT) | instid1(VALU_DEP_2)
	v_mul_hi_u32 v10, v4, v9
	v_mul_lo_u32 v11, v4, v8
	v_mul_hi_u32 v12, v4, v8
	v_mul_hi_u32 v13, v7, v9
	v_mul_lo_u32 v9, v7, v9
	v_mul_hi_u32 v14, v7, v8
	v_mul_lo_u32 v8, v7, v8
	v_add_co_u32 v10, vcc_lo, v10, v11
	v_add_co_ci_u32_e32 v11, vcc_lo, 0, v12, vcc_lo
	s_delay_alu instid0(VALU_DEP_2) | instskip(NEXT) | instid1(VALU_DEP_2)
	v_add_co_u32 v9, vcc_lo, v10, v9
	v_add_co_ci_u32_e32 v9, vcc_lo, v11, v13, vcc_lo
	v_add_co_ci_u32_e32 v10, vcc_lo, 0, v14, vcc_lo
	s_delay_alu instid0(VALU_DEP_2) | instskip(NEXT) | instid1(VALU_DEP_2)
	v_add_co_u32 v8, vcc_lo, v9, v8
	v_add_co_ci_u32_e32 v9, vcc_lo, 0, v10, vcc_lo
	s_delay_alu instid0(VALU_DEP_2) | instskip(NEXT) | instid1(VALU_DEP_2)
	v_add_co_u32 v4, vcc_lo, v4, v8
	v_add_co_ci_u32_e32 v7, vcc_lo, v7, v9, vcc_lo
	s_delay_alu instid0(VALU_DEP_2) | instskip(SKIP_1) | instid1(VALU_DEP_3)
	v_mul_hi_u32 v8, s2, v4
	v_mul_lo_u32 v10, s26, v4
	v_mul_lo_u32 v9, s2, v7
	s_delay_alu instid0(VALU_DEP_1) | instskip(SKIP_1) | instid1(VALU_DEP_2)
	v_add_nc_u32_e32 v8, v8, v9
	v_mul_lo_u32 v9, s2, v4
	v_add_nc_u32_e32 v8, v8, v10
	s_delay_alu instid0(VALU_DEP_2) | instskip(NEXT) | instid1(VALU_DEP_2)
	v_mul_hi_u32 v10, v4, v9
	v_mul_lo_u32 v11, v4, v8
	v_mul_hi_u32 v12, v4, v8
	v_mul_hi_u32 v13, v7, v9
	v_mul_lo_u32 v9, v7, v9
	v_mul_hi_u32 v14, v7, v8
	v_mul_lo_u32 v8, v7, v8
	v_add_co_u32 v10, vcc_lo, v10, v11
	v_add_co_ci_u32_e32 v11, vcc_lo, 0, v12, vcc_lo
	s_delay_alu instid0(VALU_DEP_2) | instskip(NEXT) | instid1(VALU_DEP_2)
	v_add_co_u32 v9, vcc_lo, v10, v9
	v_add_co_ci_u32_e32 v9, vcc_lo, v11, v13, vcc_lo
	v_add_co_ci_u32_e32 v10, vcc_lo, 0, v14, vcc_lo
	s_delay_alu instid0(VALU_DEP_2) | instskip(NEXT) | instid1(VALU_DEP_2)
	v_add_co_u32 v8, vcc_lo, v9, v8
	v_add_co_ci_u32_e32 v9, vcc_lo, 0, v10, vcc_lo
	s_delay_alu instid0(VALU_DEP_2) | instskip(NEXT) | instid1(VALU_DEP_2)
	v_add_co_u32 v4, vcc_lo, v4, v8
	v_add_co_ci_u32_e32 v13, vcc_lo, v7, v9, vcc_lo
	s_delay_alu instid0(VALU_DEP_2) | instskip(SKIP_1) | instid1(VALU_DEP_3)
	v_mul_hi_u32 v14, v5, v4
	v_mad_u64_u32 v[9:10], null, v6, v4, 0
	v_mad_u64_u32 v[7:8], null, v5, v13, 0
	;; [unrolled: 1-line block ×3, first 2 shown]
	s_delay_alu instid0(VALU_DEP_2) | instskip(NEXT) | instid1(VALU_DEP_3)
	v_add_co_u32 v4, vcc_lo, v14, v7
	v_add_co_ci_u32_e32 v7, vcc_lo, 0, v8, vcc_lo
	s_delay_alu instid0(VALU_DEP_2) | instskip(NEXT) | instid1(VALU_DEP_2)
	v_add_co_u32 v4, vcc_lo, v4, v9
	v_add_co_ci_u32_e32 v4, vcc_lo, v7, v10, vcc_lo
	v_add_co_ci_u32_e32 v7, vcc_lo, 0, v12, vcc_lo
	s_delay_alu instid0(VALU_DEP_2) | instskip(NEXT) | instid1(VALU_DEP_2)
	v_add_co_u32 v4, vcc_lo, v4, v11
	v_add_co_ci_u32_e32 v9, vcc_lo, 0, v7, vcc_lo
	s_delay_alu instid0(VALU_DEP_2) | instskip(SKIP_1) | instid1(VALU_DEP_3)
	v_mul_lo_u32 v10, s25, v4
	v_mad_u64_u32 v[7:8], null, s24, v4, 0
	v_mul_lo_u32 v11, s24, v9
	s_delay_alu instid0(VALU_DEP_2) | instskip(NEXT) | instid1(VALU_DEP_2)
	v_sub_co_u32 v7, vcc_lo, v5, v7
	v_add3_u32 v8, v8, v11, v10
	s_delay_alu instid0(VALU_DEP_1) | instskip(NEXT) | instid1(VALU_DEP_1)
	v_sub_nc_u32_e32 v10, v6, v8
	v_subrev_co_ci_u32_e64 v10, s2, s25, v10, vcc_lo
	v_add_co_u32 v11, s2, v4, 2
	s_delay_alu instid0(VALU_DEP_1) | instskip(SKIP_3) | instid1(VALU_DEP_3)
	v_add_co_ci_u32_e64 v12, s2, 0, v9, s2
	v_sub_co_u32 v13, s2, v7, s24
	v_sub_co_ci_u32_e32 v8, vcc_lo, v6, v8, vcc_lo
	v_subrev_co_ci_u32_e64 v10, s2, 0, v10, s2
	v_cmp_le_u32_e32 vcc_lo, s24, v13
	s_delay_alu instid0(VALU_DEP_3) | instskip(SKIP_1) | instid1(VALU_DEP_4)
	v_cmp_eq_u32_e64 s2, s25, v8
	v_cndmask_b32_e64 v13, 0, -1, vcc_lo
	v_cmp_le_u32_e32 vcc_lo, s25, v10
	v_cndmask_b32_e64 v14, 0, -1, vcc_lo
	v_cmp_le_u32_e32 vcc_lo, s24, v7
	;; [unrolled: 2-line block ×3, first 2 shown]
	v_cndmask_b32_e64 v15, 0, -1, vcc_lo
	v_cmp_eq_u32_e32 vcc_lo, s25, v10
	s_delay_alu instid0(VALU_DEP_2) | instskip(SKIP_3) | instid1(VALU_DEP_3)
	v_cndmask_b32_e64 v7, v15, v7, s2
	v_cndmask_b32_e32 v10, v14, v13, vcc_lo
	v_add_co_u32 v13, vcc_lo, v4, 1
	v_add_co_ci_u32_e32 v14, vcc_lo, 0, v9, vcc_lo
	v_cmp_ne_u32_e32 vcc_lo, 0, v10
	s_delay_alu instid0(VALU_DEP_2) | instskip(NEXT) | instid1(VALU_DEP_4)
	v_cndmask_b32_e32 v8, v14, v12, vcc_lo
	v_cndmask_b32_e32 v10, v13, v11, vcc_lo
	v_cmp_ne_u32_e32 vcc_lo, 0, v7
	s_delay_alu instid0(VALU_DEP_2)
	v_dual_cndmask_b32 v91, v4, v10 :: v_dual_cndmask_b32 v92, v9, v8
.LBB0_4:                                ;   in Loop: Header=BB0_2 Depth=1
	s_and_not1_saveexec_b32 s2, s3
	s_cbranch_execz .LBB0_6
; %bb.5:                                ;   in Loop: Header=BB0_2 Depth=1
	v_cvt_f32_u32_e32 v4, s24
	s_sub_i32 s3, 0, s24
	v_mov_b32_e32 v92, v3
	s_delay_alu instid0(VALU_DEP_2) | instskip(SKIP_2) | instid1(VALU_DEP_1)
	v_rcp_iflag_f32_e32 v4, v4
	s_waitcnt_depctr 0xfff
	v_mul_f32_e32 v4, 0x4f7ffffe, v4
	v_cvt_u32_f32_e32 v4, v4
	s_delay_alu instid0(VALU_DEP_1) | instskip(NEXT) | instid1(VALU_DEP_1)
	v_mul_lo_u32 v7, s3, v4
	v_mul_hi_u32 v7, v4, v7
	s_delay_alu instid0(VALU_DEP_1) | instskip(NEXT) | instid1(VALU_DEP_1)
	v_add_nc_u32_e32 v4, v4, v7
	v_mul_hi_u32 v4, v5, v4
	s_delay_alu instid0(VALU_DEP_1) | instskip(SKIP_1) | instid1(VALU_DEP_2)
	v_mul_lo_u32 v7, v4, s24
	v_add_nc_u32_e32 v8, 1, v4
	v_sub_nc_u32_e32 v7, v5, v7
	s_delay_alu instid0(VALU_DEP_1) | instskip(SKIP_1) | instid1(VALU_DEP_2)
	v_subrev_nc_u32_e32 v9, s24, v7
	v_cmp_le_u32_e32 vcc_lo, s24, v7
	v_dual_cndmask_b32 v7, v7, v9 :: v_dual_cndmask_b32 v4, v4, v8
	s_delay_alu instid0(VALU_DEP_1) | instskip(NEXT) | instid1(VALU_DEP_2)
	v_cmp_le_u32_e32 vcc_lo, s24, v7
	v_add_nc_u32_e32 v8, 1, v4
	s_delay_alu instid0(VALU_DEP_1)
	v_cndmask_b32_e32 v91, v4, v8, vcc_lo
.LBB0_6:                                ;   in Loop: Header=BB0_2 Depth=1
	s_or_b32 exec_lo, exec_lo, s2
	s_delay_alu instid0(VALU_DEP_1) | instskip(NEXT) | instid1(VALU_DEP_2)
	v_mul_lo_u32 v4, v92, s24
	v_mul_lo_u32 v9, v91, s25
	s_load_b64 s[2:3], s[14:15], 0x0
	v_mad_u64_u32 v[7:8], null, v91, s24, 0
	s_load_b64 s[24:25], s[12:13], 0x0
	s_add_u32 s22, s22, 1
	s_addc_u32 s23, s23, 0
	s_add_u32 s12, s12, 8
	s_addc_u32 s13, s13, 0
	s_add_u32 s14, s14, 8
	s_delay_alu instid0(VALU_DEP_1) | instskip(SKIP_3) | instid1(VALU_DEP_2)
	v_add3_u32 v4, v8, v9, v4
	v_sub_co_u32 v8, vcc_lo, v5, v7
	s_addc_u32 s15, s15, 0
	s_add_u32 s20, s20, 8
	v_sub_co_ci_u32_e32 v6, vcc_lo, v6, v4, vcc_lo
	s_addc_u32 s21, s21, 0
	s_waitcnt lgkmcnt(0)
	s_delay_alu instid0(VALU_DEP_1)
	v_mul_lo_u32 v9, s2, v6
	v_mul_lo_u32 v10, s3, v8
	v_mad_u64_u32 v[4:5], null, s2, v8, v[1:2]
	v_mul_lo_u32 v11, s24, v6
	v_mul_lo_u32 v12, s25, v8
	v_mad_u64_u32 v[6:7], null, s24, v8, v[89:90]
	v_cmp_ge_u64_e64 s2, s[22:23], s[10:11]
	v_add3_u32 v2, v10, v5, v9
	v_mov_b32_e32 v1, v4
	s_delay_alu instid0(VALU_DEP_4)
	v_add3_u32 v90, v12, v7, v11
	v_mov_b32_e32 v89, v6
	s_and_b32 vcc_lo, exec_lo, s2
	s_cbranch_vccnz .LBB0_9
; %bb.7:                                ;   in Loop: Header=BB0_2 Depth=1
	v_dual_mov_b32 v5, v91 :: v_dual_mov_b32 v6, v92
	s_branch .LBB0_2
.LBB0_8:
	v_dual_mov_b32 v90, v2 :: v_dual_mov_b32 v89, v1
	v_dual_mov_b32 v92, v6 :: v_dual_mov_b32 v91, v5
.LBB0_9:
	s_load_b64 s[0:1], s[0:1], 0x28
	s_lshl_b64 s[10:11], s[10:11], 3
	v_or_b32_e32 v147, 0x80, v0
	v_or_b32_e32 v148, 0x100, v0
	;; [unrolled: 1-line block ×4, first 2 shown]
	s_add_u32 s2, s18, s10
	s_addc_u32 s3, s19, s11
	s_waitcnt lgkmcnt(0)
	v_cmp_gt_u64_e32 vcc_lo, s[0:1], v[91:92]
	v_cmp_le_u64_e64 s0, s[0:1], v[91:92]
	s_delay_alu instid0(VALU_DEP_1) | instskip(NEXT) | instid1(SALU_CYCLE_1)
	s_and_saveexec_b32 s1, s0
	s_xor_b32 s0, exec_lo, s1
; %bb.10:
	v_or_b32_e32 v147, 0x80, v0
	v_or_b32_e32 v148, 0x100, v0
	;; [unrolled: 1-line block ×4, first 2 shown]
                                        ; implicit-def: $vgpr1_vgpr2
; %bb.11:
	s_or_saveexec_b32 s1, s0
                                        ; implicit-def: $vgpr3_vgpr4
                                        ; implicit-def: $vgpr43_vgpr44
                                        ; implicit-def: $vgpr7_vgpr8
                                        ; implicit-def: $vgpr23_vgpr24
                                        ; implicit-def: $vgpr19_vgpr20
                                        ; implicit-def: $vgpr35_vgpr36
                                        ; implicit-def: $vgpr31_vgpr32
                                        ; implicit-def: $vgpr67_vgpr68
                                        ; implicit-def: $vgpr59_vgpr60
                                        ; implicit-def: $vgpr71_vgpr72
                                        ; implicit-def: $vgpr79_vgpr80
                                        ; implicit-def: $vgpr63_vgpr64
                                        ; implicit-def: $vgpr75_vgpr76
                                        ; implicit-def: $vgpr39_vgpr40
                                        ; implicit-def: $vgpr47_vgpr48
                                        ; implicit-def: $vgpr27_vgpr28
                                        ; implicit-def: $vgpr55_vgpr56
                                        ; implicit-def: $vgpr11_vgpr12
                                        ; implicit-def: $vgpr51_vgpr52
                                        ; implicit-def: $vgpr15_vgpr16
	s_delay_alu instid0(SALU_CYCLE_1)
	s_xor_b32 exec_lo, exec_lo, s1
	s_cbranch_execz .LBB0_13
; %bb.12:
	s_add_u32 s10, s16, s10
	s_addc_u32 s11, s17, s11
	v_lshlrev_b64 v[1:2], 4, v[1:2]
	s_load_b64 s[10:11], s[10:11], 0x0
	v_lshlrev_b32_e32 v63, 4, v0
	v_lshlrev_b32_e32 v23, 4, v148
	;; [unrolled: 1-line block ×4, first 2 shown]
	s_delay_alu instid0(VALU_DEP_4)
	v_or_b32_e32 v7, 0x2800, v63
	v_or_b32_e32 v8, 0x5000, v63
	;; [unrolled: 1-line block ×13, first 2 shown]
	s_waitcnt lgkmcnt(0)
	v_mul_lo_u32 v5, s11, v91
	v_mul_lo_u32 v6, s10, v92
	v_mad_u64_u32 v[3:4], null, s10, v91, 0
	s_delay_alu instid0(VALU_DEP_1) | instskip(NEXT) | instid1(VALU_DEP_1)
	v_add3_u32 v4, v4, v6, v5
	v_lshlrev_b64 v[3:4], 4, v[3:4]
	s_delay_alu instid0(VALU_DEP_1) | instskip(NEXT) | instid1(VALU_DEP_1)
	v_add_co_u32 v3, s0, s4, v3
	v_add_co_ci_u32_e64 v4, s0, s5, v4, s0
	s_delay_alu instid0(VALU_DEP_2) | instskip(NEXT) | instid1(VALU_DEP_1)
	v_add_co_u32 v64, s0, v3, v1
	v_add_co_ci_u32_e64 v65, s0, v4, v2, s0
	s_delay_alu instid0(VALU_DEP_2) | instskip(NEXT) | instid1(VALU_DEP_1)
	v_add_co_u32 v5, s0, v64, v63
	v_add_co_ci_u32_e64 v6, s0, 0, v65, s0
	v_add_co_u32 v1, s0, v64, v7
	s_delay_alu instid0(VALU_DEP_1) | instskip(SKIP_1) | instid1(VALU_DEP_1)
	v_add_co_ci_u32_e64 v2, s0, 0, v65, s0
	v_add_co_u32 v7, s0, v64, v8
	v_add_co_ci_u32_e64 v8, s0, 0, v65, s0
	v_add_co_u32 v17, s0, v64, v9
	s_delay_alu instid0(VALU_DEP_1) | instskip(SKIP_1) | instid1(VALU_DEP_1)
	v_add_co_ci_u32_e64 v18, s0, 0, v65, s0
	v_add_co_u32 v19, s0, v64, v10
	v_add_co_ci_u32_e64 v20, s0, 0, v65, s0
	v_add_co_u32 v21, s0, v64, v11
	s_delay_alu instid0(VALU_DEP_1)
	v_add_co_ci_u32_e64 v22, s0, 0, v65, s0
	s_clause 0x5
	global_load_b128 v[1:4], v[1:2], off
	global_load_b128 v[41:44], v[7:8], off
	;; [unrolled: 1-line block ×3, first 2 shown]
	global_load_b128 v[9:12], v[5:6], off offset:2048
	global_load_b128 v[49:52], v[17:18], off
	global_load_b128 v[5:8], v[19:20], off
	v_add_co_u32 v17, s0, v64, v24
	v_or_b32_e32 v24, 0x3800, v63
	v_add_co_ci_u32_e64 v18, s0, 0, v65, s0
	v_add_co_u32 v19, s0, v64, v23
	s_delay_alu instid0(VALU_DEP_1) | instskip(NEXT) | instid1(VALU_DEP_4)
	v_add_co_ci_u32_e64 v20, s0, 0, v65, s0
	v_add_co_u32 v29, s0, v64, v24
	s_delay_alu instid0(VALU_DEP_1)
	v_add_co_ci_u32_e64 v30, s0, 0, v65, s0
	s_clause 0x3
	global_load_b128 v[21:24], v[21:22], off
	global_load_b128 v[53:56], v[17:18], off
	;; [unrolled: 1-line block ×4, first 2 shown]
	v_add_co_u32 v29, s0, v64, v31
	s_delay_alu instid0(VALU_DEP_1) | instskip(SKIP_1) | instid1(VALU_DEP_1)
	v_add_co_ci_u32_e64 v30, s0, 0, v65, s0
	v_add_co_u32 v31, s0, v64, v32
	v_add_co_ci_u32_e64 v32, s0, 0, v65, s0
	v_add_co_u32 v37, s0, v64, v33
	s_delay_alu instid0(VALU_DEP_1) | instskip(SKIP_1) | instid1(VALU_DEP_1)
	v_add_co_ci_u32_e64 v38, s0, 0, v65, s0
	v_add_co_u32 v57, s0, v64, v34
	v_add_co_ci_u32_e64 v58, s0, 0, v65, s0
	s_clause 0x3
	global_load_b128 v[33:36], v[29:30], off
	global_load_b128 v[45:48], v[31:32], off
	global_load_b128 v[37:40], v[37:38], off
	global_load_b128 v[29:32], v[57:58], off
	v_add_co_u32 v57, s0, v64, v59
	s_delay_alu instid0(VALU_DEP_1) | instskip(SKIP_1) | instid1(VALU_DEP_1)
	v_add_co_ci_u32_e64 v58, s0, 0, v65, s0
	v_add_co_u32 v59, s0, v64, v60
	v_add_co_ci_u32_e64 v60, s0, 0, v65, s0
	v_add_co_u32 v61, s0, v64, v61
	s_delay_alu instid0(VALU_DEP_1) | instskip(SKIP_4) | instid1(VALU_DEP_1)
	v_add_co_ci_u32_e64 v62, s0, 0, v65, s0
	v_add_co_u32 v69, s0, v64, v66
	v_or_b32_e32 v63, 0x9800, v63
	v_add_co_ci_u32_e64 v70, s0, 0, v65, s0
	v_add_co_u32 v71, s0, v64, v67
	v_add_co_ci_u32_e64 v72, s0, 0, v65, s0
	s_delay_alu instid0(VALU_DEP_4) | instskip(NEXT) | instid1(VALU_DEP_1)
	v_add_co_u32 v77, s0, v64, v63
	v_add_co_ci_u32_e64 v78, s0, 0, v65, s0
	s_clause 0x5
	global_load_b128 v[65:68], v[57:58], off
	global_load_b128 v[73:76], v[59:60], off
	;; [unrolled: 1-line block ×6, first 2 shown]
.LBB0_13:
	s_or_b32 exec_lo, exec_lo, s1
	s_waitcnt vmcnt(17)
	v_add_f64 v[81:82], v[13:14], -v[41:42]
	s_waitcnt vmcnt(15)
	v_add_f64 v[41:42], v[1:2], -v[49:50]
	;; [unrolled: 2-line block ×3, first 2 shown]
	v_add_f64 v[53:54], v[9:10], -v[21:22]
	s_waitcnt vmcnt(9)
	v_add_f64 v[83:84], v[25:26], -v[33:34]
	s_waitcnt vmcnt(8)
	;; [unrolled: 2-line block ×5, first 2 shown]
	v_add_f64 v[73:74], v[57:58], -v[77:78]
	v_add_f64 v[21:22], v[3:4], -v[51:52]
	;; [unrolled: 1-line block ×12, first 2 shown]
	v_lshl_add_u32 v151, v147, 5, 0
	v_lshl_add_u32 v152, v148, 5, 0
	;; [unrolled: 1-line block ×4, first 2 shown]
	s_load_b64 s[0:1], s[2:3], 0x0
	v_mad_i32_i24 v156, 0xffffffe8, v147, v151
	v_mad_i32_i24 v157, 0xffffffe8, v148, v152
	;; [unrolled: 1-line block ×4, first 2 shown]
	s_mov_b32 s4, 0x134454ff
	s_mov_b32 s5, 0xbfee6f0e
	;; [unrolled: 1-line block ×9, first 2 shown]
	v_fma_f64 v[51:52], v[13:14], 2.0, -v[81:82]
	v_fma_f64 v[1:2], v[1:2], 2.0, -v[41:42]
	;; [unrolled: 1-line block ×20, first 2 shown]
	v_add_f64 v[13:14], v[23:24], v[83:84]
	v_add_f64 v[3:4], v[21:22], v[81:82]
	;; [unrolled: 1-line block ×4, first 2 shown]
	v_add_f64 v[33:34], v[87:88], -v[33:34]
	s_mov_b32 s15, 0x3fd3c6ef
	s_mov_b32 s20, 0x9b97f4a8
	;; [unrolled: 1-line block ×7, first 2 shown]
	v_add_f64 v[1:2], v[51:52], -v[1:2]
	v_add_f64 v[7:8], v[55:56], -v[5:6]
	v_and_b32_e32 v6, 3, v0
	v_add_f64 v[11:12], v[67:68], -v[17:18]
	v_add_f64 v[17:18], v[35:36], v[65:66]
	v_add_f64 v[15:16], v[71:72], -v[25:26]
	v_add_f64 v[25:26], v[77:78], -v[41:42]
	;; [unrolled: 1-line block ×9, first 2 shown]
	v_lshl_add_u32 v5, v0, 5, 0
	v_add_f64 v[35:36], v[103:104], -v[101:102]
	v_add_f64 v[39:40], v[105:106], -v[39:40]
	v_fma_f64 v[45:46], v[81:82], 2.0, -v[3:4]
	v_fma_f64 v[61:62], v[69:70], 2.0, -v[21:22]
	;; [unrolled: 1-line block ×5, first 2 shown]
	v_mul_u32_u24_e32 v83, 3, v6
	v_mad_i32_i24 v155, 0xffffffe8, v0, v5
	v_fma_f64 v[43:44], v[51:52], 2.0, -v[1:2]
	v_fma_f64 v[47:48], v[55:56], 2.0, -v[7:8]
	;; [unrolled: 1-line block ×13, first 2 shown]
	v_lshlrev_b32_e32 v95, 4, v83
	v_fma_f64 v[75:76], v[103:104], 2.0, -v[35:36]
	ds_store_b128 v5, v[1:4] offset:16
	ds_store_b128 v5, v[43:46]
	ds_store_b128 v151, v[7:10] offset:16
	ds_store_b128 v151, v[47:50]
	;; [unrolled: 2-line block ×5, first 2 shown]
	v_fma_f64 v[79:80], v[105:106], 2.0, -v[39:40]
	s_waitcnt lgkmcnt(0)
	s_barrier
	buffer_gl0_inv
	ds_load_2addr_stride64_b64 v[1:4], v155 offset1:10
	ds_load_2addr_stride64_b64 v[7:10], v155 offset0:20 offset1:22
	ds_load_2addr_stride64_b64 v[11:14], v155 offset0:28 offset1:30
	ds_load_b64 v[83:84], v156
	ds_load_b64 v[85:86], v157
	;; [unrolled: 1-line block ×4, first 2 shown]
	ds_load_2addr_stride64_b64 v[15:18], v155 offset0:12 offset1:14
	ds_load_2addr_stride64_b64 v[19:22], v155 offset0:32 offset1:34
	;; [unrolled: 1-line block ×5, first 2 shown]
	s_waitcnt lgkmcnt(0)
	s_barrier
	buffer_gl0_inv
	ds_store_b128 v5, v[63:66]
	ds_store_b128 v5, v[23:26] offset:16
	ds_store_b128 v151, v[67:70]
	ds_store_b128 v151, v[27:30] offset:16
	;; [unrolled: 2-line block ×5, first 2 shown]
	s_waitcnt lgkmcnt(0)
	s_barrier
	buffer_gl0_inv
	s_clause 0x2
	global_load_b128 v[23:26], v95, s[8:9] offset:16
	global_load_b128 v[27:30], v95, s[8:9] offset:32
	global_load_b128 v[31:34], v95, s[8:9]
	ds_load_2addr_stride64_b64 v[35:38], v155 offset0:20 offset1:22
	ds_load_2addr_stride64_b64 v[39:42], v155 offset0:24 offset1:26
	;; [unrolled: 1-line block ×4, first 2 shown]
	ds_load_2addr_stride64_b64 v[63:66], v155 offset1:10
	ds_load_2addr_stride64_b64 v[67:70], v155 offset0:12 offset1:14
	ds_load_2addr_stride64_b64 v[71:74], v155 offset0:36 offset1:38
	;; [unrolled: 1-line block ×3, first 2 shown]
	v_lshlrev_b32_e32 v5, 2, v150
	s_waitcnt vmcnt(2) lgkmcnt(6)
	v_mul_f64 v[95:96], v[39:40], v[25:26]
	v_mul_f64 v[97:98], v[41:42], v[25:26]
	s_waitcnt vmcnt(1) lgkmcnt(1)
	v_mul_f64 v[109:110], v[71:72], v[29:30]
	v_mul_f64 v[113:114], v[73:74], v[29:30]
	;; [unrolled: 3-line block ×3, first 2 shown]
	v_mul_f64 v[79:80], v[35:36], v[25:26]
	v_mul_f64 v[81:82], v[37:38], v[25:26]
	;; [unrolled: 1-line block ×24, first 2 shown]
	v_fma_f64 v[43:44], v[43:44], v[23:24], v[95:96]
	v_fma_f64 v[45:46], v[45:46], v[23:24], v[97:98]
	;; [unrolled: 1-line block ×14, first 2 shown]
	v_fma_f64 v[35:36], v[35:36], v[23:24], -v[121:122]
	v_fma_f64 v[61:62], v[61:62], v[27:28], -v[129:130]
	;; [unrolled: 1-line block ×6, first 2 shown]
	v_fma_f64 v[11:12], v[11:12], v[23:24], v[117:118]
	v_fma_f64 v[39:40], v[39:40], v[23:24], -v[125:126]
	v_fma_f64 v[57:58], v[57:58], v[27:28], -v[133:134]
	;; [unrolled: 1-line block ×9, first 2 shown]
	v_add_f64 v[25:26], v[85:86], -v[43:44]
	v_add_f64 v[31:32], v[87:88], -v[45:46]
	;; [unrolled: 1-line block ×4, first 2 shown]
	ds_load_b64 v[45:46], v156
	ds_load_b64 v[51:52], v157
	;; [unrolled: 1-line block ×4, first 2 shown]
	v_add_f64 v[7:8], v[1:2], -v[7:8]
	v_add_f64 v[9:10], v[83:84], -v[9:10]
	s_waitcnt lgkmcnt(0)
	v_add_f64 v[13:14], v[3:4], -v[13:14]
	v_add_f64 v[19:20], v[15:16], -v[19:20]
	s_barrier
	v_add_f64 v[21:22], v[17:18], -v[21:22]
	v_add_f64 v[35:36], v[63:64], -v[35:36]
	buffer_gl0_inv
	v_add_f64 v[61:62], v[65:66], -v[61:62]
	v_add_f64 v[55:56], v[67:68], -v[55:56]
	v_add_f64 v[11:12], v[93:94], -v[11:12]
	v_add_f64 v[37:38], v[45:46], -v[37:38]
	v_add_f64 v[57:58], v[69:70], -v[57:58]
	v_add_f64 v[39:40], v[51:52], -v[39:40]
	v_add_f64 v[71:72], v[75:76], -v[71:72]
	v_add_f64 v[41:42], v[53:54], -v[41:42]
	v_add_f64 v[27:28], v[29:30], -v[27:28]
	v_add_f64 v[23:24], v[59:60], -v[23:24]
	v_fma_f64 v[77:78], v[85:86], 2.0, -v[25:26]
	v_fma_f64 v[79:80], v[87:88], 2.0, -v[31:32]
	;; [unrolled: 1-line block ×10, first 2 shown]
	v_add_f64 v[85:86], v[35:36], -v[13:14]
	v_fma_f64 v[65:66], v[65:66], 2.0, -v[61:62]
	v_add_f64 v[61:62], v[7:8], v[61:62]
	v_fma_f64 v[67:68], v[67:68], 2.0, -v[55:56]
	v_fma_f64 v[81:82], v[93:94], 2.0, -v[11:12]
	v_add_f64 v[55:56], v[9:10], v[55:56]
	v_fma_f64 v[45:46], v[45:46], 2.0, -v[37:38]
	v_fma_f64 v[69:70], v[69:70], 2.0, -v[57:58]
	;; [unrolled: 1-line block ×7, first 2 shown]
	v_add_f64 v[87:88], v[37:38], -v[19:20]
	v_add_f64 v[57:58], v[25:26], v[57:58]
	v_add_f64 v[93:94], v[39:40], -v[21:22]
	v_add_f64 v[71:72], v[31:32], v[71:72]
	;; [unrolled: 2-line block ×3, first 2 shown]
	v_add_f64 v[43:44], v[23:24], -v[43:44]
	v_add_f64 v[47:48], v[79:80], -v[47:48]
	v_add_f64 v[83:84], v[73:74], -v[1:2]
	v_lshlrev_b32_e32 v2, 2, v147
	v_add_f64 v[15:16], v[3:4], -v[15:16]
	v_add_f64 v[17:18], v[77:78], -v[17:18]
	v_lshlrev_b32_e32 v1, 2, v0
	v_add_f64 v[65:66], v[63:64], -v[65:66]
	v_fma_f64 v[13:14], v[7:8], 2.0, -v[61:62]
	v_and_b32_e32 v7, 15, v0
	v_add_f64 v[49:50], v[81:82], -v[49:50]
	v_fma_f64 v[8:9], v[9:10], 2.0, -v[55:56]
	v_add_f64 v[67:68], v[45:46], -v[67:68]
	v_add_f64 v[69:70], v[51:52], -v[69:70]
	;; [unrolled: 1-line block ×4, first 2 shown]
	v_fma_f64 v[25:26], v[25:26], 2.0, -v[57:58]
	v_fma_f64 v[31:32], v[31:32], 2.0, -v[71:72]
	;; [unrolled: 1-line block ×4, first 2 shown]
	v_and_or_b32 v12, 0x1f0, v1, v6
	v_and_or_b32 v1, 0x1c0, v1, v7
	v_fma_f64 v[33:34], v[79:80], 2.0, -v[47:48]
	v_mul_u32_u24_e32 v80, 3, v7
	s_delay_alu instid0(VALU_DEP_4) | instskip(SKIP_1) | instid1(VALU_DEP_3)
	v_lshl_add_u32 v109, v12, 3, 0
	v_fma_f64 v[19:20], v[73:74], 2.0, -v[83:84]
	v_lshlrev_b32_e32 v113, 4, v80
	v_fma_f64 v[21:22], v[3:4], 2.0, -v[15:16]
	v_lshlrev_b32_e32 v3, 2, v148
	v_lshlrev_b32_e32 v4, 2, v149
	v_fma_f64 v[29:30], v[77:78], 2.0, -v[17:18]
	v_and_or_b32 v77, 0x3f0, v2, v6
	v_fma_f64 v[63:64], v[63:64], 2.0, -v[65:66]
	v_and_or_b32 v78, 0x5f0, v3, v6
	v_and_or_b32 v79, 0x7f0, v4, v6
	v_fma_f64 v[73:74], v[81:82], 2.0, -v[49:50]
	v_lshl_add_u32 v110, v77, 3, 0
	v_fma_f64 v[81:82], v[39:40], 2.0, -v[93:94]
	v_lshl_add_u32 v111, v78, 3, 0
	;; [unrolled: 2-line block ×3, first 2 shown]
	v_fma_f64 v[79:80], v[37:38], 2.0, -v[87:88]
	v_fma_f64 v[45:46], v[45:46], 2.0, -v[67:68]
	v_fma_f64 v[51:52], v[51:52], 2.0, -v[69:70]
	v_fma_f64 v[40:41], v[41:42], 2.0, -v[95:96]
	v_fma_f64 v[53:54], v[53:54], 2.0, -v[75:76]
	v_fma_f64 v[59:60], v[59:60], 2.0, -v[97:98]
	v_and_or_b32 v6, 0x9f0, v5, v6
	v_and_or_b32 v2, 0x3c0, v2, v7
	;; [unrolled: 1-line block ×5, first 2 shown]
	v_lshl_add_u32 v6, v6, 3, 0
	ds_store_2addr_b64 v109, v[83:84], v[61:62] offset0:8 offset1:12
	ds_store_2addr_b64 v109, v[19:20], v[13:14] offset1:4
	ds_store_2addr_b64 v110, v[21:22], v[8:9] offset1:4
	ds_store_2addr_b64 v110, v[15:16], v[55:56] offset0:8 offset1:12
	ds_store_2addr_b64 v111, v[29:30], v[25:26] offset1:4
	ds_store_2addr_b64 v111, v[17:18], v[57:58] offset0:8 offset1:12
	;; [unrolled: 2-line block ×4, first 2 shown]
	s_waitcnt lgkmcnt(0)
	s_barrier
	buffer_gl0_inv
	ds_load_2addr_stride64_b64 v[8:11], v155 offset1:10
	ds_load_2addr_stride64_b64 v[12:15], v155 offset0:20 offset1:22
	ds_load_2addr_stride64_b64 v[16:19], v155 offset0:28 offset1:30
	ds_load_b64 v[101:102], v156
	ds_load_b64 v[103:104], v157
	ds_load_b64 v[105:106], v158
	ds_load_b64 v[107:108], v159
	ds_load_2addr_stride64_b64 v[20:23], v155 offset0:12 offset1:14
	ds_load_2addr_stride64_b64 v[24:27], v155 offset0:32 offset1:34
	ds_load_2addr_stride64_b64 v[28:31], v155 offset0:24 offset1:26
	ds_load_2addr_stride64_b64 v[32:35], v155 offset0:16 offset1:18
	ds_load_2addr_stride64_b64 v[36:39], v155 offset0:36 offset1:38
	s_waitcnt lgkmcnt(0)
	s_barrier
	buffer_gl0_inv
	ds_store_2addr_b64 v109, v[63:64], v[77:78] offset1:4
	ds_store_2addr_b64 v109, v[65:66], v[85:86] offset0:8 offset1:12
	ds_store_2addr_b64 v110, v[45:46], v[79:80] offset1:4
	ds_store_2addr_b64 v110, v[67:68], v[87:88] offset0:8 offset1:12
	;; [unrolled: 2-line block ×5, first 2 shown]
	s_waitcnt lgkmcnt(0)
	s_barrier
	buffer_gl0_inv
	s_clause 0x2
	global_load_b128 v[40:43], v113, s[8:9] offset:208
	global_load_b128 v[44:47], v113, s[8:9] offset:224
	;; [unrolled: 1-line block ×3, first 2 shown]
	ds_load_2addr_stride64_b64 v[52:55], v155 offset0:20 offset1:22
	ds_load_2addr_stride64_b64 v[56:59], v155 offset0:24 offset1:26
	;; [unrolled: 1-line block ×3, first 2 shown]
	ds_load_2addr_stride64_b64 v[64:67], v155 offset1:10
	ds_load_2addr_stride64_b64 v[68:71], v155 offset0:32 offset1:34
	ds_load_2addr_stride64_b64 v[72:75], v155 offset0:12 offset1:14
	;; [unrolled: 1-line block ×4, first 2 shown]
	s_waitcnt vmcnt(2)
	v_mul_f64 v[127:128], v[12:13], v[42:43]
	s_waitcnt vmcnt(1)
	v_mul_f64 v[135:136], v[18:19], v[46:47]
	;; [unrolled: 2-line block ×3, first 2 shown]
	s_waitcnt lgkmcnt(7)
	v_mul_f64 v[84:85], v[52:53], v[42:43]
	s_waitcnt lgkmcnt(5)
	v_mul_f64 v[97:98], v[62:63], v[46:47]
	;; [unrolled: 2-line block ×3, first 2 shown]
	v_mul_f64 v[86:87], v[54:55], v[42:43]
	s_waitcnt lgkmcnt(3)
	v_mul_f64 v[111:112], v[68:69], v[46:47]
	s_waitcnt lgkmcnt(2)
	v_mul_f64 v[113:114], v[72:73], v[50:51]
	v_mul_f64 v[129:130], v[14:15], v[42:43]
	;; [unrolled: 1-line block ×11, first 2 shown]
	s_waitcnt lgkmcnt(1)
	v_mul_f64 v[119:120], v[76:77], v[46:47]
	s_waitcnt lgkmcnt(0)
	v_mul_f64 v[121:122], v[80:81], v[50:51]
	v_mul_f64 v[133:134], v[30:31], v[42:43]
	;; [unrolled: 1-line block ×10, first 2 shown]
	v_fma_f64 v[52:53], v[52:53], v[40:41], -v[127:128]
	v_fma_f64 v[62:63], v[62:63], v[44:45], -v[135:136]
	;; [unrolled: 1-line block ×3, first 2 shown]
	v_fma_f64 v[12:13], v[12:13], v[40:41], v[84:85]
	v_fma_f64 v[18:19], v[18:19], v[44:45], v[97:98]
	;; [unrolled: 1-line block ×6, first 2 shown]
	v_fma_f64 v[54:55], v[54:55], v[40:41], -v[129:130]
	v_fma_f64 v[68:69], v[68:69], v[44:45], -v[137:138]
	v_fma_f64 v[72:73], v[72:73], v[48:49], -v[143:144]
	v_fma_f64 v[28:29], v[28:29], v[40:41], v[93:94]
	v_fma_f64 v[26:27], v[26:27], v[44:45], v[115:116]
	v_fma_f64 v[22:23], v[22:23], v[48:49], v[117:118]
	v_fma_f64 v[56:57], v[56:57], v[40:41], -v[131:132]
	v_fma_f64 v[70:71], v[70:71], v[44:45], -v[139:140]
	v_fma_f64 v[74:75], v[74:75], v[48:49], -v[160:161]
	v_fma_f64 v[30:31], v[30:31], v[40:41], v[95:96]
	v_fma_f64 v[36:37], v[36:37], v[44:45], v[119:120]
	v_fma_f64 v[32:33], v[32:33], v[48:49], v[121:122]
	;; [unrolled: 6-line block ×3, first 2 shown]
	v_fma_f64 v[40:41], v[60:61], v[40:41], -v[42:43]
	v_fma_f64 v[42:43], v[78:79], v[44:45], -v[46:47]
	;; [unrolled: 1-line block ×3, first 2 shown]
	ds_load_b64 v[46:47], v156
	ds_load_b64 v[48:49], v157
	;; [unrolled: 1-line block ×4, first 2 shown]
	v_and_b32_e32 v160, 63, v0
	s_waitcnt lgkmcnt(0)
	s_barrier
	buffer_gl0_inv
	v_mul_u32_u24_e32 v6, 9, v160
	v_add_f64 v[52:53], v[64:65], -v[52:53]
	v_add_f64 v[62:63], v[66:67], -v[62:63]
	;; [unrolled: 1-line block ×20, first 2 shown]
	v_fma_f64 v[64:65], v[64:65], 2.0, -v[52:53]
	v_fma_f64 v[66:67], v[66:67], 2.0, -v[62:63]
	;; [unrolled: 1-line block ×3, first 2 shown]
	v_add_f64 v[62:63], v[12:13], v[62:63]
	v_fma_f64 v[10:11], v[10:11], 2.0, -v[18:19]
	v_fma_f64 v[78:79], v[101:102], 2.0, -v[14:15]
	v_add_f64 v[95:96], v[52:53], -v[18:19]
	v_fma_f64 v[20:21], v[20:21], 2.0, -v[24:25]
	v_fma_f64 v[46:47], v[46:47], 2.0, -v[54:55]
	v_add_f64 v[101:102], v[54:55], -v[24:25]
	v_fma_f64 v[72:73], v[72:73], 2.0, -v[68:69]
	v_fma_f64 v[82:83], v[103:104], 2.0, -v[28:29]
	v_add_f64 v[68:69], v[14:15], v[68:69]
	v_fma_f64 v[22:23], v[22:23], 2.0, -v[26:27]
	v_fma_f64 v[48:49], v[48:49], 2.0, -v[56:57]
	v_fma_f64 v[74:75], v[74:75], 2.0, -v[70:71]
	v_fma_f64 v[84:85], v[105:106], 2.0, -v[30:31]
	v_add_f64 v[70:71], v[28:29], v[70:71]
	v_fma_f64 v[32:33], v[32:33], 2.0, -v[36:37]
	v_fma_f64 v[50:51], v[50:51], 2.0, -v[58:59]
	v_add_f64 v[105:106], v[56:57], -v[26:27]
	v_fma_f64 v[80:81], v[80:81], 2.0, -v[76:77]
	v_fma_f64 v[86:87], v[107:108], 2.0, -v[16:17]
	v_add_f64 v[76:77], v[30:31], v[76:77]
	v_fma_f64 v[34:35], v[34:35], 2.0, -v[38:39]
	v_fma_f64 v[60:61], v[60:61], 2.0, -v[40:41]
	v_add_f64 v[36:37], v[58:59], -v[36:37]
	v_fma_f64 v[44:45], v[44:45], 2.0, -v[42:43]
	v_add_f64 v[42:43], v[16:17], v[42:43]
	v_add_f64 v[38:39], v[40:41], -v[38:39]
	v_add_f64 v[66:67], v[64:65], -v[66:67]
	v_fma_f64 v[12:13], v[12:13], 2.0, -v[62:63]
	v_add_f64 v[10:11], v[8:9], -v[10:11]
	v_fma_f64 v[52:53], v[52:53], 2.0, -v[95:96]
	v_add_f64 v[20:21], v[78:79], -v[20:21]
	v_fma_f64 v[54:55], v[54:55], 2.0, -v[101:102]
	v_add_f64 v[103:104], v[46:47], -v[72:73]
	v_fma_f64 v[14:15], v[14:15], 2.0, -v[68:69]
	v_add_f64 v[22:23], v[82:83], -v[22:23]
	v_add_f64 v[73:74], v[48:49], -v[74:75]
	v_lshl_add_u32 v75, v1, 3, 0
	v_fma_f64 v[24:25], v[28:29], 2.0, -v[70:71]
	v_add_f64 v[32:33], v[84:85], -v[32:33]
	v_fma_f64 v[56:57], v[56:57], 2.0, -v[105:106]
	v_add_f64 v[80:81], v[50:51], -v[80:81]
	;; [unrolled: 2-line block ×4, first 2 shown]
	v_fma_f64 v[16:17], v[16:17], 2.0, -v[42:43]
	v_fma_f64 v[40:41], v[40:41], 2.0, -v[38:39]
	;; [unrolled: 1-line block ×7, first 2 shown]
	v_lshl_add_u32 v82, v2, 3, 0
	v_lshl_add_u32 v83, v3, 3, 0
	v_fma_f64 v[48:49], v[48:49], 2.0, -v[73:74]
	v_fma_f64 v[30:31], v[84:85], 2.0, -v[32:33]
	v_lshl_add_u32 v84, v4, 3, 0
	v_lshl_add_u32 v85, v5, 3, 0
	v_fma_f64 v[50:51], v[50:51], 2.0, -v[80:81]
	v_fma_f64 v[78:79], v[86:87], 2.0, -v[34:35]
	v_lshlrev_b32_e32 v86, 4, v6
	ds_store_2addr_b64 v75, v[10:11], v[62:63] offset0:32 offset1:48
	ds_store_2addr_b64 v75, v[8:9], v[12:13] offset1:16
	ds_store_2addr_b64 v82, v[18:19], v[14:15] offset1:16
	ds_store_2addr_b64 v82, v[20:21], v[68:69] offset0:32 offset1:48
	ds_store_2addr_b64 v83, v[26:27], v[24:25] offset1:16
	ds_store_2addr_b64 v83, v[22:23], v[70:71] offset0:32 offset1:48
	;; [unrolled: 2-line block ×4, first 2 shown]
	v_fma_f64 v[60:61], v[60:61], 2.0, -v[44:45]
	s_waitcnt lgkmcnt(0)
	s_barrier
	buffer_gl0_inv
	ds_load_2addr_stride64_b64 v[1:4], v155 offset1:6
	ds_load_2addr_stride64_b64 v[69:72], v155 offset0:10 offset1:12
	ds_load_2addr_stride64_b64 v[25:28], v155 offset0:14 offset1:16
	;; [unrolled: 1-line block ×3, first 2 shown]
	ds_load_b64 v[143:144], v159
	ds_load_b64 v[97:98], v157
	;; [unrolled: 1-line block ×3, first 2 shown]
	ds_load_b64 v[99:100], v155 offset:19456
	ds_load_2addr_stride64_b64 v[5:8], v155 offset0:22 offset1:24
	ds_load_2addr_stride64_b64 v[17:20], v155 offset0:26 offset1:28
	;; [unrolled: 1-line block ×4, first 2 shown]
	s_waitcnt lgkmcnt(0)
	s_barrier
	buffer_gl0_inv
	ds_store_2addr_b64 v75, v[64:65], v[52:53] offset1:16
	ds_store_2addr_b64 v75, v[66:67], v[95:96] offset0:32 offset1:48
	ds_store_2addr_b64 v82, v[46:47], v[54:55] offset1:16
	ds_store_2addr_b64 v82, v[103:104], v[101:102] offset0:32 offset1:48
	;; [unrolled: 2-line block ×5, first 2 shown]
	s_waitcnt lgkmcnt(0)
	s_barrier
	buffer_gl0_inv
	s_clause 0x8
	global_load_b128 v[29:32], v86, s[8:9] offset:992
	global_load_b128 v[101:104], v86, s[8:9] offset:976
	;; [unrolled: 1-line block ×9, first 2 shown]
	ds_load_2addr_stride64_b64 v[161:164], v155 offset0:10 offset1:12
	ds_load_b64 v[105:106], v159
	ds_load_2addr_stride64_b64 v[61:64], v155 offset0:14 offset1:16
	ds_load_2addr_stride64_b64 v[65:68], v155 offset0:18 offset1:20
	ds_load_2addr_stride64_b64 v[73:76], v155 offset0:22 offset1:24
	ds_load_b64 v[109:110], v157
	ds_load_2addr_stride64_b64 v[77:80], v155 offset0:30 offset1:32
	ds_load_2addr_stride64_b64 v[81:84], v155 offset0:26 offset1:28
	;; [unrolled: 1-line block ×3, first 2 shown]
	s_waitcnt vmcnt(8) lgkmcnt(8)
	v_mul_f64 v[95:96], v[163:164], v[31:32]
	s_waitcnt vmcnt(7)
	v_mul_f64 v[111:112], v[161:162], v[103:104]
	s_waitcnt lgkmcnt(7)
	v_mul_f64 v[145:146], v[105:106], v[103:104]
	v_mul_f64 v[165:166], v[143:144], v[103:104]
	;; [unrolled: 1-line block ×3, first 2 shown]
	s_waitcnt vmcnt(6) lgkmcnt(6)
	v_mul_f64 v[137:138], v[63:64], v[35:36]
	s_waitcnt vmcnt(5) lgkmcnt(5)
	v_mul_f64 v[133:134], v[67:68], v[39:40]
	v_mul_f64 v[135:136], v[65:66], v[35:36]
	;; [unrolled: 1-line block ×5, first 2 shown]
	s_waitcnt vmcnt(4) lgkmcnt(4)
	v_mul_f64 v[119:120], v[75:76], v[43:44]
	s_waitcnt vmcnt(3) lgkmcnt(2)
	v_mul_f64 v[123:124], v[79:80], v[55:56]
	v_mul_f64 v[169:170], v[71:72], v[31:32]
	s_waitcnt vmcnt(2) lgkmcnt(1)
	v_mul_f64 v[121:122], v[83:84], v[51:52]
	v_mul_f64 v[113:114], v[7:8], v[43:44]
	;; [unrolled: 1-line block ×3, first 2 shown]
	s_waitcnt vmcnt(1) lgkmcnt(0)
	v_mul_f64 v[117:118], v[87:88], v[59:60]
	v_mul_f64 v[125:126], v[81:82], v[43:44]
	;; [unrolled: 1-line block ×7, first 2 shown]
	v_fma_f64 v[107:108], v[71:72], v[29:30], v[95:96]
	v_fma_f64 v[35:36], v[69:70], v[101:102], v[111:112]
	ds_load_b64 v[111:112], v155 offset:19456
	v_fma_f64 v[95:96], v[143:144], v[101:102], v[145:146]
	v_mul_f64 v[143:144], v[19:20], v[51:52]
	v_mul_f64 v[145:146], v[15:16], v[59:60]
	v_fma_f64 v[103:104], v[105:106], v[101:102], -v[165:166]
	v_fma_f64 v[101:102], v[161:162], v[101:102], -v[167:168]
	ds_load_b64 v[161:162], v156
	v_fma_f64 v[27:28], v[27:28], v[33:34], v[137:138]
	v_mul_f64 v[137:138], v[73:74], v[39:40]
	v_mul_f64 v[39:40], v[5:6], v[39:40]
	v_fma_f64 v[23:24], v[23:24], v[37:38], v[133:134]
	v_fma_f64 v[21:22], v[21:22], v[33:34], v[135:136]
	v_mul_f64 v[133:134], v[77:78], v[51:52]
	v_fma_f64 v[63:64], v[63:64], v[33:34], -v[129:130]
	v_fma_f64 v[33:34], v[65:66], v[33:34], -v[131:132]
	v_mul_f64 v[51:52], v[9:10], v[51:52]
	v_fma_f64 v[65:66], v[67:68], v[37:38], -v[127:128]
	v_fma_f64 v[7:8], v[7:8], v[41:42], v[119:120]
	v_fma_f64 v[11:12], v[11:12], v[53:54], v[123:124]
	ds_load_2addr_stride64_b64 v[69:72], v155 offset1:6
	s_waitcnt lgkmcnt(2)
	v_mul_f64 v[67:68], v[111:112], v[59:60]
	v_fma_f64 v[105:106], v[163:164], v[29:30], -v[169:170]
	v_mul_f64 v[59:60], v[99:100], v[59:60]
	v_fma_f64 v[19:20], v[19:20], v[49:50], v[121:122]
	s_waitcnt vmcnt(0)
	v_mul_f64 v[119:120], v[109:110], v[47:48]
	v_mul_f64 v[121:122], v[97:98], v[47:48]
	v_fma_f64 v[75:76], v[75:76], v[41:42], -v[113:114]
	v_fma_f64 v[79:80], v[79:80], v[53:54], -v[115:116]
	v_fma_f64 v[15:16], v[15:16], v[57:58], v[117:118]
	v_fma_f64 v[17:18], v[17:18], v[41:42], v[125:126]
	;; [unrolled: 1-line block ×4, first 2 shown]
	v_fma_f64 v[41:42], v[81:82], v[41:42], -v[43:44]
	v_fma_f64 v[43:44], v[85:86], v[53:54], -v[55:56]
	;; [unrolled: 1-line block ×3, first 2 shown]
	v_lshrrev_b32_e32 v167, 6, v0
	v_lshrrev_b32_e32 v168, 6, v147
	s_waitcnt lgkmcnt(0)
	s_barrier
	v_mul_f64 v[113:114], v[71:72], v[47:48]
	v_fma_f64 v[83:84], v[83:84], v[49:50], -v[143:144]
	v_fma_f64 v[87:88], v[87:88], v[57:58], -v[145:146]
	v_mul_f64 v[47:48], v[3:4], v[47:48]
	v_mul_u32_u24_e32 v167, 0x280, v167
	v_mul_lo_u32 v168, 0x280, v168
	buffer_gl0_inv
	v_fma_f64 v[5:6], v[5:6], v[37:38], v[137:138]
	v_fma_f64 v[31:32], v[73:74], v[37:38], -v[39:40]
	v_add_f64 v[85:86], v[107:108], -v[23:24]
	v_add_f64 v[129:130], v[35:36], -v[21:22]
	v_fma_f64 v[9:10], v[9:10], v[49:50], v[133:134]
	v_add_f64 v[123:124], v[63:64], -v[103:104]
	v_add_f64 v[133:134], v[21:22], -v[35:36]
	v_fma_f64 v[37:38], v[77:78], v[49:50], -v[51:52]
	v_add_f64 v[77:78], v[27:28], -v[95:96]
	v_add_f64 v[39:40], v[27:28], v[7:8]
	v_add_f64 v[49:50], v[95:96], v[11:12]
	v_add_f64 v[81:82], v[7:8], -v[11:12]
	v_fma_f64 v[51:52], v[99:100], v[57:58], v[67:68]
	v_add_f64 v[115:116], v[65:66], -v[105:106]
	v_fma_f64 v[53:54], v[111:112], v[57:58], -v[59:60]
	v_add_f64 v[111:112], v[105:106], -v[65:66]
	v_fma_f64 v[55:56], v[97:98], v[45:46], v[119:120]
	v_fma_f64 v[57:58], v[109:110], v[45:46], -v[121:122]
	v_add_f64 v[119:120], v[103:104], -v[63:64]
	v_add_f64 v[121:122], v[79:80], -v[75:76]
	;; [unrolled: 1-line block ×3, first 2 shown]
	v_add_f64 v[127:128], v[107:108], v[15:16]
	v_add_f64 v[97:98], v[15:16], -v[19:20]
	v_add_f64 v[99:100], v[23:24], -v[107:108]
	;; [unrolled: 1-line block ×9, first 2 shown]
	v_fma_f64 v[3:4], v[3:4], v[45:46], v[113:114]
	v_add_f64 v[143:144], v[33:34], -v[101:102]
	v_add_f64 v[113:114], v[87:88], -v[83:84]
	;; [unrolled: 1-line block ×3, first 2 shown]
	v_add_f64 v[139:140], v[105:106], v[87:88]
	v_fma_f64 v[45:46], v[71:72], v[45:46], -v[47:48]
	v_add_f64 v[47:48], v[1:2], v[95:96]
	v_add_f64 v[71:72], v[65:66], v[83:84]
	v_add_f64 v[145:146], v[41:42], -v[43:44]
	v_add_f64 v[165:166], v[5:6], -v[25:26]
	v_add_f64 v[59:60], v[63:64], v[75:76]
	v_add_f64 v[61:62], v[103:104], v[79:80]
	v_add_f64 v[95:96], v[95:96], -v[11:12]
	v_or_b32_e32 v167, v167, v160
	v_fma_f64 v[39:40], v[39:40], -0.5, v[1:2]
	v_fma_f64 v[1:2], v[49:50], -0.5, v[1:2]
	v_add_f64 v[49:50], v[25:26], -v[5:6]
	v_add_f64 v[163:164], v[51:52], -v[9:10]
	v_add_f64 v[77:78], v[77:78], v[81:82]
	v_add_f64 v[81:82], v[29:30], -v[31:32]
	v_add_f64 v[119:120], v[119:120], v[121:122]
	;; [unrolled: 2-line block ×3, first 2 shown]
	v_fma_f64 v[125:126], v[127:128], -0.5, v[55:56]
	v_add_f64 v[85:86], v[85:86], v[97:98]
	v_add_f64 v[97:98], v[53:54], -v[37:38]
	v_add_f64 v[99:100], v[99:100], v[109:110]
	v_add_f64 v[109:110], v[31:32], -v[29:30]
	v_add_f64 v[127:128], v[37:38], -v[53:54]
	v_add_f64 v[129:130], v[129:130], v[131:132]
	v_add_f64 v[131:132], v[23:24], -v[19:20]
	v_add_f64 v[133:134], v[133:134], v[135:136]
	v_add_f64 v[135:136], v[31:32], v[37:38]
	;; [unrolled: 1-line block ×7, first 2 shown]
	v_fma_f64 v[139:140], v[139:140], -0.5, v[57:58]
	v_add_f64 v[73:74], v[9:10], -v[51:52]
	v_add_f64 v[137:138], v[137:138], v[141:142]
	v_add_f64 v[141:142], v[29:30], v[53:54]
	v_add_f64 v[107:108], v[107:108], -v[15:16]
	v_fma_f64 v[71:72], v[71:72], -0.5, v[57:58]
	v_add_f64 v[57:58], v[57:58], v[105:106]
	v_add_f64 v[143:144], v[143:144], v[145:146]
	;; [unrolled: 1-line block ×3, first 2 shown]
	v_add_f64 v[105:106], v[105:106], -v[87:88]
	v_fma_f64 v[59:60], v[59:60], -0.5, v[69:70]
	v_fma_f64 v[61:62], v[61:62], -0.5, v[69:70]
	v_add_f64 v[69:70], v[69:70], v[103:104]
	v_add_f64 v[49:50], v[49:50], v[163:164]
	;; [unrolled: 1-line block ×3, first 2 shown]
	v_add_f64 v[103:104], v[103:104], -v[79:80]
	v_add_f64 v[47:48], v[47:48], v[27:28]
	v_add_f64 v[27:28], v[27:28], -v[7:8]
	v_add_f64 v[81:82], v[81:82], v[97:98]
	v_add_f64 v[97:98], v[109:110], v[127:128]
	v_fma_f64 v[135:136], v[135:136], -0.5, v[45:46]
	v_add_f64 v[23:24], v[113:114], v[23:24]
	v_add_f64 v[113:114], v[3:4], v[25:26]
	v_fma_f64 v[55:56], v[117:118], -0.5, v[55:56]
	v_fma_f64 v[117:118], v[121:122], s[2:3], v[125:126]
	v_fma_f64 v[125:126], v[121:122], s[4:5], v[125:126]
	v_add_f64 v[25:26], v[25:26], -v[51:52]
	v_fma_f64 v[109:110], v[131:132], s[4:5], v[139:140]
	v_fma_f64 v[127:128], v[131:132], s[2:3], v[139:140]
	v_add_f64 v[73:74], v[165:166], v[73:74]
	v_add_f64 v[165:166], v[45:46], v[29:30]
	v_fma_f64 v[45:46], v[141:142], -0.5, v[45:46]
	v_fma_f64 v[139:140], v[107:108], s[2:3], v[71:72]
	v_fma_f64 v[71:72], v[107:108], s[4:5], v[71:72]
	v_add_f64 v[141:142], v[5:6], -v[9:10]
	v_add_f64 v[57:58], v[57:58], v[65:66]
	v_add_f64 v[65:66], v[33:34], v[41:42]
	v_fma_f64 v[145:146], v[145:146], -0.5, v[3:4]
	v_fma_f64 v[3:4], v[163:164], -0.5, v[3:4]
	v_add_f64 v[163:164], v[101:102], v[43:44]
	v_add_f64 v[29:30], v[29:30], -v[53:54]
	v_add_f64 v[69:70], v[69:70], v[63:64]
	v_add_f64 v[63:64], v[63:64], -v[75:76]
	v_add_f64 v[7:8], v[47:48], v[7:8]
	v_add_f64 v[19:20], v[23:24], v[19:20]
	;; [unrolled: 1-line block ×4, first 2 shown]
	v_fma_f64 v[23:24], v[105:106], s[4:5], v[55:56]
	v_fma_f64 v[55:56], v[105:106], s[2:3], v[55:56]
	;; [unrolled: 1-line block ×4, first 2 shown]
	v_add_f64 v[125:126], v[35:36], v[13:14]
	v_fma_f64 v[109:110], v[107:108], s[10:11], v[109:110]
	v_fma_f64 v[107:108], v[107:108], s[12:13], v[127:128]
	;; [unrolled: 1-line block ×4, first 2 shown]
	v_add_f64 v[165:166], v[165:166], v[31:32]
	v_fma_f64 v[139:140], v[131:132], s[10:11], v[139:140]
	v_fma_f64 v[71:72], v[131:132], s[12:13], v[71:72]
	;; [unrolled: 1-line block ×4, first 2 shown]
	v_add_f64 v[31:32], v[31:32], -v[37:38]
	v_fma_f64 v[65:66], v[65:66], -0.5, v[161:162]
	v_fma_f64 v[163:164], v[163:164], -0.5, v[161:162]
	v_add_f64 v[161:162], v[161:162], v[101:102]
	v_add_f64 v[101:102], v[101:102], -v[43:44]
	v_add_f64 v[47:48], v[69:70], v[75:76]
	v_fma_f64 v[69:70], v[95:96], s[2:3], v[59:60]
	v_fma_f64 v[59:60], v[95:96], s[4:5], v[59:60]
	;; [unrolled: 1-line block ×4, first 2 shown]
	v_add_f64 v[57:58], v[57:58], v[83:84]
	v_add_f64 v[7:8], v[7:8], v[11:12]
	;; [unrolled: 1-line block ×4, first 2 shown]
	v_fma_f64 v[113:114], v[113:114], -0.5, v[93:94]
	v_fma_f64 v[23:24], v[121:122], s[12:13], v[23:24]
	v_fma_f64 v[55:56], v[121:122], s[10:11], v[55:56]
	;; [unrolled: 1-line block ×4, first 2 shown]
	v_fma_f64 v[125:126], v[125:126], -0.5, v[93:94]
	v_add_f64 v[93:94], v[93:94], v[35:36]
	v_add_f64 v[35:36], v[35:36], -v[13:14]
	v_fma_f64 v[127:128], v[141:142], s[10:11], v[127:128]
	v_fma_f64 v[135:136], v[141:142], s[12:13], v[135:136]
	;; [unrolled: 1-line block ×10, first 2 shown]
	v_add_f64 v[161:162], v[161:162], v[33:34]
	v_add_f64 v[33:34], v[33:34], -v[41:42]
	v_fma_f64 v[107:108], v[115:116], s[14:15], v[107:108]
	v_fma_f64 v[71:72], v[111:112], s[14:15], v[71:72]
	v_add_f64 v[37:38], v[165:166], v[37:38]
	v_fma_f64 v[11:12], v[27:28], s[10:11], v[69:70]
	v_fma_f64 v[19:20], v[27:28], s[12:13], v[59:60]
	;; [unrolled: 1-line block ×4, first 2 shown]
	v_add_f64 v[47:48], v[47:48], v[79:80]
	v_add_f64 v[57:58], v[57:58], v[87:88]
	;; [unrolled: 1-line block ×3, first 2 shown]
	v_fma_f64 v[23:24], v[85:86], s[14:15], v[23:24]
	v_fma_f64 v[55:56], v[85:86], s[14:15], v[55:56]
	;; [unrolled: 1-line block ×4, first 2 shown]
	v_add_f64 v[93:94], v[93:94], v[21:22]
	v_add_f64 v[21:22], v[21:22], -v[17:18]
	v_fma_f64 v[111:112], v[81:82], s[14:15], v[127:128]
	v_fma_f64 v[81:82], v[81:82], s[14:15], v[135:136]
	;; [unrolled: 1-line block ×18, first 2 shown]
	v_mul_f64 v[105:106], v[139:140], s[12:13]
	v_mul_f64 v[117:118], v[71:72], s[12:13]
	v_add_f64 v[41:42], v[161:162], v[41:42]
	v_mul_f64 v[51:52], v[109:110], s[14:15]
	v_mul_f64 v[75:76], v[107:108], s[16:17]
	;; [unrolled: 1-line block ×3, first 2 shown]
	v_add_f64 v[37:38], v[37:38], v[53:54]
	v_fma_f64 v[11:12], v[119:120], s[14:15], v[11:12]
	v_fma_f64 v[27:28], v[123:124], s[14:15], v[27:28]
	;; [unrolled: 1-line block ×6, first 2 shown]
	v_add_f64 v[17:18], v[93:94], v[17:18]
	v_fma_f64 v[97:98], v[21:22], s[4:5], v[163:164]
	v_fma_f64 v[131:132], v[21:22], s[2:3], v[163:164]
	v_mul_f64 v[77:78], v[111:112], s[20:21]
	v_fma_f64 v[85:86], v[49:50], s[14:15], v[141:142]
	v_fma_f64 v[31:32], v[49:50], s[14:15], v[31:32]
	;; [unrolled: 1-line block ×4, first 2 shown]
	v_mul_f64 v[49:50], v[111:112], s[12:13]
	v_fma_f64 v[45:46], v[73:74], s[14:15], v[45:46]
	v_mul_f64 v[121:122], v[127:128], s[4:5]
	v_fma_f64 v[29:30], v[33:34], s[12:13], v[29:30]
	v_fma_f64 v[33:34], v[33:34], s[10:11], v[113:114]
	;; [unrolled: 1-line block ×3, first 2 shown]
	v_mul_f64 v[113:114], v[109:110], s[4:5]
	v_mul_f64 v[115:116], v[107:108], s[4:5]
	v_fma_f64 v[101:102], v[101:102], s[10:11], v[125:126]
	v_fma_f64 v[3:4], v[73:74], s[14:15], v[3:4]
	v_mul_f64 v[73:74], v[25:26], s[4:5]
	v_mul_f64 v[125:126], v[81:82], s[12:13]
	v_fma_f64 v[61:62], v[21:22], s[10:11], v[83:84]
	v_fma_f64 v[21:22], v[21:22], s[12:13], v[65:66]
	v_mul_f64 v[83:84], v[127:128], s[14:15]
	v_mul_f64 v[25:26], v[25:26], s[16:17]
	;; [unrolled: 1-line block ×3, first 2 shown]
	v_add_f64 v[41:42], v[41:42], v[43:44]
	v_add_f64 v[43:44], v[7:8], v[15:16]
	v_add_f64 v[7:8], v[7:8], -v[15:16]
	v_or_b32_e32 v109, v168, v160
	v_lshl_add_u32 v110, v167, 3, 0
	s_delay_alu instid0(VALU_DEP_2)
	v_lshl_add_u32 v109, v109, 3, 0
	v_add_f64 v[13:14], v[17:18], v[13:14]
	v_mul_f64 v[17:18], v[139:140], s[20:21]
	v_fma_f64 v[65:66], v[35:36], s[10:11], v[97:98]
	v_fma_f64 v[35:36], v[35:36], s[12:13], v[131:132]
	;; [unrolled: 1-line block ×21, first 2 shown]
	v_add_f64 v[81:82], v[47:48], v[57:58]
	v_add_f64 v[83:84], v[41:42], v[37:38]
	v_add_f64 v[37:38], v[41:42], -v[37:38]
	v_add_f64 v[57:58], v[47:48], -v[57:58]
	v_fma_f64 v[15:16], v[23:24], s[10:11], v[17:18]
	v_add_f64 v[17:18], v[13:14], v[5:6]
	v_fma_f64 v[23:24], v[103:104], s[2:3], v[51:52]
	v_add_f64 v[5:6], v[13:14], -v[5:6]
	v_fma_f64 v[13:14], v[99:100], s[2:3], v[75:76]
	v_fma_f64 v[51:52], v[55:56], s[10:11], v[71:72]
	;; [unrolled: 1-line block ×5, first 2 shown]
	v_add_f64 v[31:32], v[69:70], v[93:94]
	v_add_f64 v[75:76], v[39:40], v[67:68]
	v_add_f64 v[69:70], v[69:70], -v[93:94]
	v_add_f64 v[39:40], v[39:40], -v[67:68]
	v_add_f64 v[65:66], v[9:10], v[95:96]
	v_add_f64 v[71:72], v[1:2], v[97:98]
	v_add_f64 v[9:10], v[9:10], -v[95:96]
	v_add_f64 v[1:2], v[1:2], -v[97:98]
	v_add_f64 v[67:68], v[29:30], v[49:50]
	v_add_f64 v[29:30], v[29:30], -v[49:50]
	v_add_f64 v[49:50], v[63:64], v[105:106]
	v_add_f64 v[77:78], v[101:102], v[73:74]
	;; [unrolled: 1-line block ×3, first 2 shown]
	v_add_f64 v[63:64], v[63:64], -v[105:106]
	v_add_f64 v[73:74], v[101:102], -v[73:74]
	;; [unrolled: 1-line block ×3, first 2 shown]
	v_add_f64 v[105:106], v[21:22], v[25:26]
	v_add_f64 v[107:108], v[21:22], -v[25:26]
	ds_store_2addr_stride64_b64 v110, v[43:44], v[31:32] offset1:1
	ds_store_2addr_stride64_b64 v110, v[65:66], v[71:72] offset0:2 offset1:3
	ds_store_2addr_stride64_b64 v110, v[75:76], v[7:8] offset0:4 offset1:5
	;; [unrolled: 1-line block ×4, first 2 shown]
	ds_store_2addr_stride64_b64 v109, v[17:18], v[67:68] offset1:1
	ds_store_2addr_stride64_b64 v109, v[49:50], v[77:78] offset0:2 offset1:3
	ds_store_2addr_stride64_b64 v109, v[79:80], v[5:6] offset0:4 offset1:5
	;; [unrolled: 1-line block ×4, first 2 shown]
	v_add_f64 v[41:42], v[11:12], v[15:16]
	v_add_f64 v[87:88], v[27:28], v[23:24]
	;; [unrolled: 1-line block ×4, first 2 shown]
	v_add_f64 v[85:86], v[11:12], -v[15:16]
	v_add_f64 v[93:94], v[27:28], -v[23:24]
	;; [unrolled: 1-line block ×4, first 2 shown]
	v_add_f64 v[101:102], v[59:60], v[55:56]
	v_add_f64 v[55:56], v[59:60], -v[55:56]
	v_add_f64 v[59:60], v[61:62], v[45:46]
	v_add_f64 v[103:104], v[35:36], v[3:4]
	v_add_f64 v[61:62], v[61:62], -v[45:46]
	v_add_f64 v[35:36], v[35:36], -v[3:4]
	s_waitcnt lgkmcnt(0)
	s_barrier
	buffer_gl0_inv
	ds_load_2addr_stride64_b64 v[1:4], v155 offset1:10
	ds_load_2addr_stride64_b64 v[13:16], v155 offset0:20 offset1:22
	ds_load_2addr_stride64_b64 v[29:32], v155 offset0:28 offset1:30
	ds_load_2addr_stride64_b64 v[9:12], v155 offset0:12 offset1:14
	ds_load_2addr_stride64_b64 v[5:8], v155 offset0:32 offset1:34
	ds_load_2addr_stride64_b64 v[17:20], v155 offset0:24 offset1:26
	ds_load_2addr_stride64_b64 v[25:28], v155 offset0:16 offset1:18
	ds_load_2addr_stride64_b64 v[21:24], v155 offset0:36 offset1:38
	ds_load_b64 v[51:52], v156
	ds_load_b64 v[49:50], v157
	;; [unrolled: 1-line block ×4, first 2 shown]
	s_waitcnt lgkmcnt(0)
	s_barrier
	buffer_gl0_inv
	ds_store_2addr_stride64_b64 v110, v[81:82], v[41:42] offset1:1
	ds_store_2addr_stride64_b64 v110, v[87:88], v[95:96] offset0:2 offset1:3
	ds_store_2addr_stride64_b64 v110, v[97:98], v[57:58] offset0:4 offset1:5
	;; [unrolled: 1-line block ×4, first 2 shown]
	ds_store_2addr_stride64_b64 v109, v[83:84], v[101:102] offset1:1
	ds_store_2addr_stride64_b64 v109, v[59:60], v[103:104] offset0:2 offset1:3
	ds_store_2addr_stride64_b64 v109, v[105:106], v[37:38] offset0:4 offset1:5
	;; [unrolled: 1-line block ×4, first 2 shown]
	s_waitcnt lgkmcnt(0)
	s_barrier
	buffer_gl0_inv
	s_and_saveexec_b32 s2, vcc_lo
	s_cbranch_execz .LBB0_15
; %bb.14:
	v_mul_u32_u24_e32 v33, 3, v0
	v_mul_i32_i24_e32 v53, 3, v150
	v_mov_b32_e32 v54, 0
	v_mul_i32_i24_e32 v145, 0xffffffe8, v150
	v_mul_lo_u32 v150, s0, v92
	v_lshlrev_b32_e32 v35, 4, v33
	v_mul_i32_i24_e32 v144, 0xffffffe8, v149
	v_lshlrev_b64 v[33:34], 4, v[53:54]
	v_mul_i32_i24_e32 v53, 3, v149
	v_add_nc_u32_e32 v165, v154, v145
	v_add_co_u32 v39, s2, s8, v35
	s_delay_alu instid0(VALU_DEP_1) | instskip(SKIP_2) | instid1(VALU_DEP_4)
	v_add_co_ci_u32_e64 v40, null, s9, 0, s2
	v_add_co_u32 v41, vcc_lo, s8, v33
	v_add_co_ci_u32_e32 v42, vcc_lo, s9, v34, vcc_lo
	v_add_co_u32 v33, vcc_lo, 0x27c0, v39
	s_delay_alu instid0(VALU_DEP_4) | instskip(NEXT) | instid1(VALU_DEP_4)
	v_add_co_ci_u32_e32 v34, vcc_lo, 0, v40, vcc_lo
	v_add_co_u32 v35, vcc_lo, 0x27c0, v41
	s_delay_alu instid0(VALU_DEP_4)
	v_add_co_ci_u32_e32 v36, vcc_lo, 0, v42, vcc_lo
	s_clause 0x1
	global_load_b128 v[55:58], v[33:34], off offset:32
	global_load_b128 v[59:62], v[35:36], off offset:16
	v_lshlrev_b64 v[37:38], 4, v[53:54]
	v_add_co_u32 v39, vcc_lo, 0x2000, v39
	v_add_co_ci_u32_e32 v40, vcc_lo, 0, v40, vcc_lo
	v_add_co_u32 v41, vcc_lo, 0x2000, v41
	v_add_co_ci_u32_e32 v42, vcc_lo, 0, v42, vcc_lo
	;; [unrolled: 2-line block ×3, first 2 shown]
	s_clause 0x3
	global_load_b128 v[63:66], v[33:34], off offset:16
	global_load_b128 v[67:70], v[39:40], off offset:1984
	;; [unrolled: 1-line block ×4, first 2 shown]
	v_add_co_u32 v37, vcc_lo, 0x27c0, v43
	v_add_co_ci_u32_e32 v38, vcc_lo, 0, v44, vcc_lo
	v_add_co_u32 v39, vcc_lo, 0x2000, v43
	v_add_co_ci_u32_e32 v40, vcc_lo, 0, v44, vcc_lo
	v_mul_i32_i24_e32 v53, 3, v148
	s_clause 0x2
	global_load_b128 v[33:36], v[37:38], off offset:32
	global_load_b128 v[79:82], v[37:38], off offset:16
	;; [unrolled: 1-line block ×3, first 2 shown]
	v_dual_mov_b32 v149, v54 :: v_dual_add_nc_u32 v144, v153, v144
	v_dual_mov_b32 v146, v54 :: v_dual_add_nc_u32 v161, 0x80, v0
	v_lshlrev_b64 v[41:42], 4, v[53:54]
	v_mul_i32_i24_e32 v53, 3, v147
	v_lshlrev_b64 v[89:90], 4, v[89:90]
	v_mul_i32_i24_e32 v143, 0xffffffe8, v148
	v_add_nc_u32_e32 v162, 0x100, v0
	v_dual_mov_b32 v145, v54 :: v_dual_add_nc_u32 v164, 0x200, v0
	v_add_co_u32 v83, vcc_lo, s8, v41
	v_add_co_ci_u32_e32 v84, vcc_lo, s9, v42, vcc_lo
	v_lshlrev_b64 v[41:42], 4, v[53:54]
	s_delay_alu instid0(VALU_DEP_3) | instskip(NEXT) | instid1(VALU_DEP_3)
	v_add_co_u32 v43, vcc_lo, 0x2000, v83
	v_add_co_ci_u32_e32 v44, vcc_lo, 0, v84, vcc_lo
	v_add_co_u32 v87, vcc_lo, 0x27c0, v83
	v_add_co_ci_u32_e32 v88, vcc_lo, 0, v84, vcc_lo
	;; [unrolled: 2-line block ×3, first 2 shown]
	s_clause 0x1
	global_load_b128 v[83:86], v[43:44], off offset:1984
	global_load_b128 v[93:96], v[87:88], off offset:16
	v_add_co_u32 v41, vcc_lo, 0x27c0, v53
	v_add_co_ci_u32_e32 v42, vcc_lo, 0, v101, vcc_lo
	v_add_co_u32 v43, vcc_lo, 0x2000, v53
	v_add_co_ci_u32_e32 v44, vcc_lo, 0, v101, vcc_lo
	s_clause 0x3
	global_load_b128 v[97:100], v[87:88], off offset:32
	global_load_b128 v[101:104], v[41:42], off offset:16
	;; [unrolled: 1-line block ×4, first 2 shown]
	ds_load_2addr_stride64_b64 v[113:116], v155 offset0:28 offset1:30
	ds_load_2addr_stride64_b64 v[117:120], v155 offset0:20 offset1:22
	ds_load_2addr_stride64_b64 v[41:44], v155 offset1:10
	ds_load_2addr_stride64_b64 v[121:124], v155 offset0:16 offset1:18
	ds_load_2addr_stride64_b64 v[125:128], v155 offset0:36 offset1:38
	v_mul_i32_i24_e32 v53, 0xffffffe8, v147
	v_mul_lo_u32 v147, s1, v91
	v_mad_u64_u32 v[87:88], null, s0, v91, 0
	ds_load_2addr_stride64_b64 v[129:132], v155 offset0:24 offset1:26
	ds_load_2addr_stride64_b64 v[133:136], v155 offset0:12 offset1:14
	;; [unrolled: 1-line block ×3, first 2 shown]
	v_mul_hi_u32 v155, 0xcccccccd, v0
	v_add_nc_u32_e32 v167, v151, v53
	v_mul_hi_u32 v53, 0xcccccccd, v161
	v_dual_mov_b32 v151, v54 :: v_dual_add_nc_u32 v166, v152, v143
	v_add3_u32 v88, v88, v150, v147
	v_mov_b32_e32 v143, v54
	v_mul_hi_u32 v168, 0xcccccccd, v162
	v_lshrrev_b32_e32 v155, 9, v155
	v_mov_b32_e32 v152, v54
	v_lshlrev_b64 v[87:88], 4, v[87:88]
	v_lshrrev_b32_e32 v53, 9, v53
	v_dual_mov_b32 v148, v54 :: v_dual_add_nc_u32 v163, 0x180, v0
	v_mul_u32_u24_e32 v147, 0x280, v155
	v_mul_hi_u32 v170, 0xcccccccd, v164
	v_add_co_u32 v87, vcc_lo, s6, v87
	v_add_co_ci_u32_e32 v88, vcc_lo, s7, v88, vcc_lo
	v_mul_hi_u32 v169, 0xcccccccd, v163
	s_delay_alu instid0(VALU_DEP_3) | instskip(NEXT) | instid1(VALU_DEP_3)
	v_add_co_u32 v171, vcc_lo, v87, v89
	v_add_co_ci_u32_e32 v172, vcc_lo, v88, v90, vcc_lo
	ds_load_b64 v[88:89], v165
	v_sub_nc_u32_e32 v0, v0, v147
	v_mov_b32_e32 v87, v54
	v_lshrrev_b32_e32 v150, 9, v169
	s_delay_alu instid0(VALU_DEP_3)
	v_lshlrev_b32_e32 v0, 4, v0
	s_waitcnt vmcnt(14) lgkmcnt(8)
	v_mul_f64 v[91:92], v[57:58], v[115:116]
	v_mul_f64 v[57:58], v[31:32], v[57:58]
	s_waitcnt vmcnt(13)
	v_mul_f64 v[141:142], v[29:30], v[61:62]
	v_mul_f64 v[61:62], v[113:114], v[61:62]
	s_waitcnt vmcnt(12)
	v_mul_f64 v[153:154], v[13:14], v[65:66]
	s_waitcnt lgkmcnt(7)
	v_mul_f64 v[65:66], v[117:118], v[65:66]
	s_waitcnt vmcnt(11) lgkmcnt(6)
	v_mul_f64 v[155:156], v[69:70], v[43:44]
	v_mul_f64 v[69:70], v[3:4], v[69:70]
	s_waitcnt vmcnt(10) lgkmcnt(5)
	v_mul_f64 v[157:158], v[73:74], v[123:124]
	v_mul_f64 v[73:74], v[27:28], v[73:74]
	s_waitcnt vmcnt(9) lgkmcnt(4)
	v_mul_f64 v[159:160], v[77:78], v[127:128]
	v_fma_f64 v[31:32], v[31:32], v[55:56], v[91:92]
	v_fma_f64 v[55:56], v[55:56], v[115:116], -v[57:58]
	v_mul_f64 v[57:58], v[23:24], v[77:78]
	s_waitcnt vmcnt(7)
	v_mul_f64 v[77:78], v[19:20], v[81:82]
	s_waitcnt lgkmcnt(3)
	v_mul_f64 v[81:82], v[131:132], v[81:82]
	v_mul_u32_u24_e32 v115, 0x280, v53
	v_fma_f64 v[29:30], v[29:30], v[59:60], v[61:62]
	v_fma_f64 v[91:92], v[59:60], v[113:114], -v[141:142]
	s_waitcnt vmcnt(6)
	v_mul_f64 v[113:114], v[39:40], v[121:122]
	v_mul_f64 v[59:60], v[35:36], v[125:126]
	v_sub_nc_u32_e32 v90, v161, v115
	v_mul_f64 v[39:40], v[25:26], v[39:40]
	v_fma_f64 v[117:118], v[63:64], v[117:118], -v[153:154]
	v_fma_f64 v[13:14], v[13:14], v[63:64], v[65:66]
	v_fma_f64 v[3:4], v[3:4], v[67:68], v[155:156]
	s_waitcnt vmcnt(5) lgkmcnt(2)
	v_mul_f64 v[61:62], v[85:86], v[135:136]
	s_waitcnt vmcnt(4)
	v_mul_f64 v[115:116], v[17:18], v[95:96]
	v_mul_f64 v[63:64], v[11:12], v[85:86]
	v_fma_f64 v[43:44], v[67:68], v[43:44], -v[69:70]
	v_fma_f64 v[27:28], v[27:28], v[71:72], v[157:158]
	v_fma_f64 v[71:72], v[71:72], v[123:124], -v[73:74]
	v_fma_f64 v[23:24], v[23:24], v[75:76], v[159:160]
	v_mul_f64 v[35:36], v[21:22], v[35:36]
	v_lshrrev_b32_e32 v141, 9, v168
	v_lshrrev_b32_e32 v161, 9, v170
	s_waitcnt vmcnt(3)
	v_mul_f64 v[65:66], v[7:8], v[99:100]
	s_waitcnt vmcnt(2)
	v_mul_f64 v[67:68], v[15:16], v[103:104]
	v_mul_f64 v[69:70], v[119:120], v[103:104]
	s_waitcnt vmcnt(1)
	v_mul_f64 v[73:74], v[107:108], v[133:134]
	v_mul_f64 v[85:86], v[9:10], v[107:108]
	s_waitcnt vmcnt(0) lgkmcnt(1)
	v_mul_f64 v[103:104], v[111:112], v[137:138]
	v_mad_u32_u24 v53, 0xa00, v53, v90
	v_mul_u32_u24_e32 v90, 0x280, v150
	ds_load_b64 v[107:108], v167
	v_add_nc_u32_e32 v142, 0x280, v53
	v_sub_nc_u32_e32 v124, v163, v90
	v_fma_f64 v[57:58], v[75:76], v[127:128], -v[57:58]
	v_mul_f64 v[75:76], v[5:6], v[111:112]
	v_fma_f64 v[77:78], v[79:80], v[131:132], -v[77:78]
	v_fma_f64 v[19:20], v[19:20], v[79:80], v[81:82]
	v_mul_f64 v[79:80], v[129:130], v[95:96]
	v_mul_f64 v[81:82], v[99:100], v[139:140]
	v_fma_f64 v[25:26], v[25:26], v[37:38], v[113:114]
	v_fma_f64 v[21:22], v[21:22], v[33:34], v[59:60]
	v_mul_u32_u24_e32 v99, 0x280, v141
	v_fma_f64 v[37:38], v[37:38], v[121:122], -v[39:40]
	v_mul_u32_u24_e32 v111, 0x280, v161
	v_lshlrev_b64 v[59:60], 4, v[53:54]
	v_add_f64 v[31:32], v[3:4], -v[31:32]
	v_fma_f64 v[11:12], v[11:12], v[83:84], v[61:62]
	v_fma_f64 v[61:62], v[93:94], v[129:130], -v[115:116]
	v_fma_f64 v[63:64], v[83:84], v[135:136], -v[63:64]
	v_sub_nc_u32_e32 v123, v162, v99
	ds_load_b64 v[99:100], v166
	ds_load_b64 v[95:96], v144
	v_add_f64 v[55:56], v[43:44], -v[55:56]
	v_fma_f64 v[33:34], v[33:34], v[125:126], -v[35:36]
	v_sub_nc_u32_e32 v153, v164, v111
	v_add_co_u32 v111, vcc_lo, v171, v0
	v_fma_f64 v[65:66], v[97:98], v[139:140], -v[65:66]
	v_fma_f64 v[67:68], v[101:102], v[119:120], -v[67:68]
	v_fma_f64 v[15:16], v[15:16], v[101:102], v[69:70]
	v_fma_f64 v[69:70], v[105:106], v[133:134], -v[85:86]
	v_fma_f64 v[9:10], v[9:10], v[105:106], v[73:74]
	v_fma_f64 v[5:6], v[5:6], v[109:110], v[103:104]
	v_add_f64 v[101:102], v[45:46], -v[29:30]
	v_add_co_ci_u32_e32 v112, vcc_lo, 0, v172, vcc_lo
	s_waitcnt lgkmcnt(3)
	v_add_f64 v[90:91], v[88:89], -v[91:92]
	v_add_co_u32 v113, vcc_lo, 0x2000, v111
	s_delay_alu instid0(VALU_DEP_3)
	v_add_co_ci_u32_e32 v114, vcc_lo, 0, v112, vcc_lo
	v_add_co_u32 v83, vcc_lo, 0x5000, v111
	v_fma_f64 v[75:76], v[109:110], v[137:138], -v[75:76]
	s_waitcnt lgkmcnt(0)
	v_add_f64 v[77:78], v[95:96], -v[77:78]
	v_fma_f64 v[17:18], v[17:18], v[93:94], v[79:80]
	v_fma_f64 v[7:8], v[7:8], v[97:98], v[81:82]
	v_add_f64 v[79:80], v[41:42], -v[117:118]
	v_add_f64 v[81:82], v[1:2], -v[13:14]
	;; [unrolled: 1-line block ×5, first 2 shown]
	v_add_nc_u32_e32 v144, 0x500, v53
	v_add_nc_u32_e32 v53, 0x780, v53
	v_add_co_ci_u32_e32 v84, vcc_lo, 0, v112, vcc_lo
	v_add_f64 v[57:58], v[99:100], -v[61:62]
	v_add_co_u32 v93, vcc_lo, 0x7000, v111
	v_lshlrev_b64 v[35:36], 4, v[142:143]
	v_add_co_ci_u32_e32 v94, vcc_lo, 0, v112, vcc_lo
	v_add_f64 v[33:34], v[37:38], -v[33:34]
	v_lshlrev_b64 v[39:40], 4, v[144:145]
	v_add_co_u32 v97, vcc_lo, v171, v59
	v_add_f64 v[61:62], v[63:64], -v[65:66]
	v_add_f64 v[65:66], v[107:108], -v[67:68]
	v_add_f64 v[67:68], v[51:52], -v[15:16]
	v_lshlrev_b64 v[73:74], 4, v[53:54]
	v_mad_u32_u24 v53, 0xa00, v141, v123
	v_add_co_ci_u32_e32 v98, vcc_lo, v172, v60, vcc_lo
	v_add_co_u32 v109, vcc_lo, v171, v35
	v_add_co_ci_u32_e32 v110, vcc_lo, v172, v36, vcc_lo
	s_delay_alu instid0(VALU_DEP_4)
	v_lshlrev_b64 v[59:60], 4, v[53:54]
	v_add_co_u32 v115, vcc_lo, v171, v39
	v_add_co_ci_u32_e32 v116, vcc_lo, v172, v40, vcc_lo
	v_add_f64 v[29:30], v[69:70], -v[75:76]
	v_add_f64 v[75:76], v[9:10], -v[5:6]
	;; [unrolled: 1-line block ×5, first 2 shown]
	v_add_co_u32 v117, vcc_lo, v171, v73
	v_add_co_ci_u32_e32 v118, vcc_lo, v172, v74, vcc_lo
	v_add_co_u32 v119, vcc_lo, v171, v59
	v_add_co_ci_u32_e32 v120, vcc_lo, v172, v60, vcc_lo
	v_fma_f64 v[21:22], v[43:44], 2.0, -v[55:56]
	v_fma_f64 v[35:36], v[3:4], 2.0, -v[31:32]
	;; [unrolled: 1-line block ×6, first 2 shown]
	v_add_nc_u32_e32 v145, 0x280, v53
	v_add_nc_u32_e32 v147, 0x500, v53
	;; [unrolled: 1-line block ×3, first 2 shown]
	v_fma_f64 v[41:42], v[63:64], 2.0, -v[61:62]
	v_fma_f64 v[99:100], v[107:108], 2.0, -v[65:66]
	;; [unrolled: 1-line block ×4, first 2 shown]
	v_lshlrev_b64 v[19:20], 4, v[53:54]
	v_mad_u32_u24 v53, 0xa00, v150, v124
	v_fma_f64 v[37:38], v[37:38], 2.0, -v[33:34]
	v_fma_f64 v[123:124], v[47:48], 2.0, -v[105:106]
	;; [unrolled: 1-line block ×5, first 2 shown]
	v_lshlrev_b64 v[5:6], 4, v[145:146]
	v_lshlrev_b64 v[7:8], 4, v[147:148]
	v_add_f64 v[2:3], v[79:80], -v[31:32]
	v_add_f64 v[0:1], v[81:82], v[55:56]
	v_add_nc_u32_e32 v148, 0x280, v53
	v_fma_f64 v[43:44], v[69:70], 2.0, -v[29:30]
	v_fma_f64 v[51:52], v[9:10], 2.0, -v[75:76]
	;; [unrolled: 1-line block ×5, first 2 shown]
	v_add_co_u32 v127, vcc_lo, v171, v5
	v_add_co_ci_u32_e32 v128, vcc_lo, v172, v6, vcc_lo
	v_add_co_u32 v129, vcc_lo, v171, v7
	v_add_co_ci_u32_e32 v130, vcc_lo, v172, v8, vcc_lo
	v_add_co_u32 v131, vcc_lo, v171, v19
	v_add_f64 v[6:7], v[90:91], -v[13:14]
	v_add_f64 v[10:11], v[77:78], -v[17:18]
	v_add_f64 v[14:15], v[57:58], -v[15:16]
	v_add_f64 v[18:19], v[59:60], -v[21:22]
	v_add_f64 v[16:17], v[73:74], -v[35:36]
	v_add_co_ci_u32_e32 v132, vcc_lo, v172, v20, vcc_lo
	v_add_f64 v[4:5], v[101:102], v[23:24]
	v_add_f64 v[20:21], v[67:68], v[29:30]
	v_add_f64 v[22:23], v[65:66], -v[75:76]
	v_add_f64 v[30:31], v[71:72], -v[41:42]
	v_add_f64 v[12:13], v[103:104], v[61:62]
	v_add_f64 v[8:9], v[105:106], v[33:34]
	v_add_f64 v[34:35], v[95:96], -v[37:38]
	v_lshlrev_b64 v[63:64], 4, v[53:54]
	v_add_f64 v[38:39], v[88:89], -v[39:40]
	v_lshlrev_b64 v[69:70], 4, v[148:149]
	v_add_f64 v[36:37], v[125:126], -v[45:46]
	v_add_nc_u32_e32 v150, 0x500, v53
	v_add_nc_u32_e32 v53, 0x780, v53
	v_add_co_u32 v137, vcc_lo, v171, v63
	v_add_co_ci_u32_e32 v138, vcc_lo, v172, v64, vcc_lo
	v_add_f64 v[26:27], v[99:100], -v[43:44]
	v_add_f64 v[24:25], v[107:108], -v[51:52]
	;; [unrolled: 1-line block ×4, first 2 shown]
	v_fma_f64 v[42:43], v[79:80], 2.0, -v[2:3]
	v_fma_f64 v[40:41], v[81:82], 2.0, -v[0:1]
	v_add_co_u32 v141, vcc_lo, v171, v69
	v_add_co_ci_u32_e32 v142, vcc_lo, v172, v70, vcc_lo
	v_lshlrev_b64 v[135:136], 4, v[53:54]
	v_mad_u32_u24 v53, 0xa00, v161, v153
	v_lshlrev_b64 v[133:134], 4, v[150:151]
	v_fma_f64 v[46:47], v[90:91], 2.0, -v[6:7]
	v_fma_f64 v[50:51], v[77:78], 2.0, -v[10:11]
	;; [unrolled: 1-line block ×5, first 2 shown]
	v_add_nc_u32_e32 v151, 0x280, v53
	v_lshlrev_b64 v[139:140], 4, v[53:54]
	v_fma_f64 v[44:45], v[101:102], 2.0, -v[4:5]
	v_fma_f64 v[63:64], v[67:68], 2.0, -v[20:21]
	;; [unrolled: 1-line block ×7, first 2 shown]
	v_add_co_u32 v133, vcc_lo, v171, v133
	v_fma_f64 v[81:82], v[88:89], 2.0, -v[38:39]
	v_fma_f64 v[79:80], v[125:126], 2.0, -v[36:37]
	v_add_nc_u32_e32 v86, 0x500, v53
	v_add_co_ci_u32_e32 v134, vcc_lo, v172, v134, vcc_lo
	v_add_co_u32 v88, vcc_lo, v171, v135
	v_lshlrev_b64 v[90:91], 4, v[151:152]
	v_fma_f64 v[69:70], v[99:100], 2.0, -v[26:27]
	v_fma_f64 v[67:68], v[107:108], 2.0, -v[24:25]
	;; [unrolled: 1-line block ×4, first 2 shown]
	v_add_nc_u32_e32 v53, 0x780, v53
	v_add_co_ci_u32_e32 v89, vcc_lo, v172, v136, vcc_lo
	v_lshlrev_b64 v[85:86], 4, v[86:87]
	v_add_co_u32 v95, vcc_lo, v171, v139
	v_add_co_ci_u32_e32 v96, vcc_lo, v172, v140, vcc_lo
	v_lshlrev_b64 v[52:53], 4, v[53:54]
	v_add_co_u32 v90, vcc_lo, v171, v90
	v_add_co_ci_u32_e32 v91, vcc_lo, v172, v91, vcc_lo
	v_add_co_u32 v85, vcc_lo, v171, v85
	v_add_co_ci_u32_e32 v86, vcc_lo, v172, v86, vcc_lo
	;; [unrolled: 2-line block ×3, first 2 shown]
	s_clause 0x13
	global_store_b128 v[83:84], v[16:19], off
	global_store_b128 v[93:94], v[0:3], off offset:2048
	global_store_b128 v[111:112], v[59:62], off
	global_store_b128 v[113:114], v[40:43], off offset:2048
	global_store_b128 v[115:116], v[24:27], off
	global_store_b128 v[117:118], v[20:23], off
	global_store_b128 v[97:98], v[67:70], off
	global_store_b128 v[109:110], v[63:66], off
	global_store_b128 v[119:120], v[71:74], off
	global_store_b128 v[127:128], v[55:58], off
	global_store_b128 v[129:130], v[28:31], off
	global_store_b128 v[131:132], v[12:15], off
	global_store_b128 v[137:138], v[75:78], off
	global_store_b128 v[141:142], v[48:51], off
	global_store_b128 v[133:134], v[32:35], off
	global_store_b128 v[88:89], v[8:11], off
	global_store_b128 v[95:96], v[79:82], off
	global_store_b128 v[90:91], v[44:47], off
	global_store_b128 v[85:86], v[36:39], off
	global_store_b128 v[52:53], v[4:7], off
.LBB0_15:
	s_nop 0
	s_sendmsg sendmsg(MSG_DEALLOC_VGPRS)
	s_endpgm
	.section	.rodata,"a",@progbits
	.p2align	6, 0x0
	.amdhsa_kernel fft_rtc_back_len2560_factors_4_4_4_10_4_wgs_128_tpt_128_halfLds_dp_op_CI_CI_unitstride_sbrr_dirReg
		.amdhsa_group_segment_fixed_size 0
		.amdhsa_private_segment_fixed_size 0
		.amdhsa_kernarg_size 104
		.amdhsa_user_sgpr_count 15
		.amdhsa_user_sgpr_dispatch_ptr 0
		.amdhsa_user_sgpr_queue_ptr 0
		.amdhsa_user_sgpr_kernarg_segment_ptr 1
		.amdhsa_user_sgpr_dispatch_id 0
		.amdhsa_user_sgpr_private_segment_size 0
		.amdhsa_wavefront_size32 1
		.amdhsa_uses_dynamic_stack 0
		.amdhsa_enable_private_segment 0
		.amdhsa_system_sgpr_workgroup_id_x 1
		.amdhsa_system_sgpr_workgroup_id_y 0
		.amdhsa_system_sgpr_workgroup_id_z 0
		.amdhsa_system_sgpr_workgroup_info 0
		.amdhsa_system_vgpr_workitem_id 0
		.amdhsa_next_free_vgpr 173
		.amdhsa_next_free_sgpr 27
		.amdhsa_reserve_vcc 1
		.amdhsa_float_round_mode_32 0
		.amdhsa_float_round_mode_16_64 0
		.amdhsa_float_denorm_mode_32 3
		.amdhsa_float_denorm_mode_16_64 3
		.amdhsa_dx10_clamp 1
		.amdhsa_ieee_mode 1
		.amdhsa_fp16_overflow 0
		.amdhsa_workgroup_processor_mode 1
		.amdhsa_memory_ordered 1
		.amdhsa_forward_progress 0
		.amdhsa_shared_vgpr_count 0
		.amdhsa_exception_fp_ieee_invalid_op 0
		.amdhsa_exception_fp_denorm_src 0
		.amdhsa_exception_fp_ieee_div_zero 0
		.amdhsa_exception_fp_ieee_overflow 0
		.amdhsa_exception_fp_ieee_underflow 0
		.amdhsa_exception_fp_ieee_inexact 0
		.amdhsa_exception_int_div_zero 0
	.end_amdhsa_kernel
	.text
.Lfunc_end0:
	.size	fft_rtc_back_len2560_factors_4_4_4_10_4_wgs_128_tpt_128_halfLds_dp_op_CI_CI_unitstride_sbrr_dirReg, .Lfunc_end0-fft_rtc_back_len2560_factors_4_4_4_10_4_wgs_128_tpt_128_halfLds_dp_op_CI_CI_unitstride_sbrr_dirReg
                                        ; -- End function
	.section	.AMDGPU.csdata,"",@progbits
; Kernel info:
; codeLenInByte = 13136
; NumSgprs: 29
; NumVgprs: 173
; ScratchSize: 0
; MemoryBound: 1
; FloatMode: 240
; IeeeMode: 1
; LDSByteSize: 0 bytes/workgroup (compile time only)
; SGPRBlocks: 3
; VGPRBlocks: 21
; NumSGPRsForWavesPerEU: 29
; NumVGPRsForWavesPerEU: 173
; Occupancy: 8
; WaveLimiterHint : 1
; COMPUTE_PGM_RSRC2:SCRATCH_EN: 0
; COMPUTE_PGM_RSRC2:USER_SGPR: 15
; COMPUTE_PGM_RSRC2:TRAP_HANDLER: 0
; COMPUTE_PGM_RSRC2:TGID_X_EN: 1
; COMPUTE_PGM_RSRC2:TGID_Y_EN: 0
; COMPUTE_PGM_RSRC2:TGID_Z_EN: 0
; COMPUTE_PGM_RSRC2:TIDIG_COMP_CNT: 0
	.text
	.p2alignl 7, 3214868480
	.fill 96, 4, 3214868480
	.type	__hip_cuid_b85f0980d6870c2a,@object ; @__hip_cuid_b85f0980d6870c2a
	.section	.bss,"aw",@nobits
	.globl	__hip_cuid_b85f0980d6870c2a
__hip_cuid_b85f0980d6870c2a:
	.byte	0                               ; 0x0
	.size	__hip_cuid_b85f0980d6870c2a, 1

	.ident	"AMD clang version 19.0.0git (https://github.com/RadeonOpenCompute/llvm-project roc-6.4.0 25133 c7fe45cf4b819c5991fe208aaa96edf142730f1d)"
	.section	".note.GNU-stack","",@progbits
	.addrsig
	.addrsig_sym __hip_cuid_b85f0980d6870c2a
	.amdgpu_metadata
---
amdhsa.kernels:
  - .args:
      - .actual_access:  read_only
        .address_space:  global
        .offset:         0
        .size:           8
        .value_kind:     global_buffer
      - .offset:         8
        .size:           8
        .value_kind:     by_value
      - .actual_access:  read_only
        .address_space:  global
        .offset:         16
        .size:           8
        .value_kind:     global_buffer
      - .actual_access:  read_only
        .address_space:  global
        .offset:         24
        .size:           8
        .value_kind:     global_buffer
      - .actual_access:  read_only
        .address_space:  global
        .offset:         32
        .size:           8
        .value_kind:     global_buffer
      - .offset:         40
        .size:           8
        .value_kind:     by_value
      - .actual_access:  read_only
        .address_space:  global
        .offset:         48
        .size:           8
        .value_kind:     global_buffer
      - .actual_access:  read_only
        .address_space:  global
        .offset:         56
        .size:           8
        .value_kind:     global_buffer
      - .offset:         64
        .size:           4
        .value_kind:     by_value
      - .actual_access:  read_only
        .address_space:  global
        .offset:         72
        .size:           8
        .value_kind:     global_buffer
      - .actual_access:  read_only
        .address_space:  global
        .offset:         80
        .size:           8
        .value_kind:     global_buffer
      - .actual_access:  read_only
        .address_space:  global
        .offset:         88
        .size:           8
        .value_kind:     global_buffer
      - .actual_access:  write_only
        .address_space:  global
        .offset:         96
        .size:           8
        .value_kind:     global_buffer
    .group_segment_fixed_size: 0
    .kernarg_segment_align: 8
    .kernarg_segment_size: 104
    .language:       OpenCL C
    .language_version:
      - 2
      - 0
    .max_flat_workgroup_size: 128
    .name:           fft_rtc_back_len2560_factors_4_4_4_10_4_wgs_128_tpt_128_halfLds_dp_op_CI_CI_unitstride_sbrr_dirReg
    .private_segment_fixed_size: 0
    .sgpr_count:     29
    .sgpr_spill_count: 0
    .symbol:         fft_rtc_back_len2560_factors_4_4_4_10_4_wgs_128_tpt_128_halfLds_dp_op_CI_CI_unitstride_sbrr_dirReg.kd
    .uniform_work_group_size: 1
    .uses_dynamic_stack: false
    .vgpr_count:     173
    .vgpr_spill_count: 0
    .wavefront_size: 32
    .workgroup_processor_mode: 1
amdhsa.target:   amdgcn-amd-amdhsa--gfx1100
amdhsa.version:
  - 1
  - 2
...

	.end_amdgpu_metadata
